;; amdgpu-corpus repo=ROCm/rocFFT kind=compiled arch=gfx950 opt=O3
	.text
	.amdgcn_target "amdgcn-amd-amdhsa--gfx950"
	.amdhsa_code_object_version 6
	.protected	bluestein_single_fwd_len792_dim1_dp_op_CI_CI ; -- Begin function bluestein_single_fwd_len792_dim1_dp_op_CI_CI
	.globl	bluestein_single_fwd_len792_dim1_dp_op_CI_CI
	.p2align	8
	.type	bluestein_single_fwd_len792_dim1_dp_op_CI_CI,@function
bluestein_single_fwd_len792_dim1_dp_op_CI_CI: ; @bluestein_single_fwd_len792_dim1_dp_op_CI_CI
; %bb.0:
	s_load_dwordx4 s[12:15], s[0:1], 0x28
	v_mul_u32_u24_e32 v1, 0x2e9, v0
	v_lshrrev_b32_e32 v4, 16, v1
	v_mov_b32_e32 v159, 0
	v_lshl_add_u32 v8, s2, 1, v4
	v_mov_b32_e32 v9, v159
	s_waitcnt lgkmcnt(0)
	v_cmp_gt_u64_e32 vcc, s[12:13], v[8:9]
	s_and_saveexec_b64 s[2:3], vcc
	s_cbranch_execz .LBB0_39
; %bb.1:
	s_load_dwordx4 s[4:7], s[0:1], 0x18
	s_load_dwordx2 s[16:17], s[0:1], 0x0
	v_mul_lo_u16_e32 v1, 0x58, v4
	v_sub_u16_e32 v158, v0, v1
	v_accvgpr_write_b32 a14, v8
	s_waitcnt lgkmcnt(0)
	s_load_dwordx4 s[8:11], s[4:5], 0x0
	v_lshlrev_b32_e32 v14, 4, v158
	v_mov_b32_e32 v15, v159
	v_lshl_add_u64 v[18:19], s[16:17], 0, v[14:15]
	v_mov_b32_e32 v2, s14
	s_waitcnt lgkmcnt(0)
	v_mad_u64_u32 v[0:1], s[2:3], s10, v8, 0
	v_mov_b32_e32 v6, v1
	v_mad_u64_u32 v[6:7], s[2:3], s11, v8, v[6:7]
	v_mov_b32_e32 v1, v6
	;; [unrolled: 2-line block ×3, first 2 shown]
	v_mad_u64_u32 v[8:9], s[2:3], s9, v158, v[8:9]
	s_movk_i32 s10, 0x1000
	v_mov_b32_e32 v3, s15
	s_mul_i32 s2, s9, 0x18c
	s_mul_hi_u32 s3, s8, 0x18c
	v_add_co_u32_e32 v16, vcc, s10, v18
	s_mul_hi_u32 s10, s8, 0xfffffecc
	v_mov_b32_e32 v7, v8
	v_lshl_add_u64 v[0:1], v[0:1], 4, v[2:3]
	s_add_i32 s3, s3, s2
	s_mul_i32 s2, s8, 0x18c
	s_mulk_i32 s9, 0xfecc
	s_sub_i32 s10, s10, s8
	v_lshl_add_u64 v[0:1], v[6:7], 4, v[0:1]
	s_lshl_b64 s[4:5], s[2:3], 4
	v_addc_co_u32_e32 v17, vcc, 0, v19, vcc
	s_add_i32 s15, s10, s9
	s_mul_i32 s14, s8, 0xfffffecc
	v_lshl_add_u64 v[2:3], v[0:1], 0, s[4:5]
	global_load_dwordx4 v[6:9], v[0:1], off
	global_load_dwordx4 v[10:13], v[2:3], off
	global_load_dwordx4 v[20:23], v[16:17], off offset:2240
	global_load_dwordx4 v[68:71], v14, s[16:17]
	s_lshl_b64 s[8:9], s[14:15], 4
	v_lshl_add_u64 v[0:1], v[2:3], 0, s[8:9]
	global_load_dwordx4 v[60:63], v14, s[16:17] offset:1408
	global_load_dwordx4 v[32:35], v[0:1], off
	v_lshl_add_u64 v[0:1], v[0:1], 0, s[4:5]
	global_load_dwordx4 v[36:39], v[0:1], off
	global_load_dwordx4 v[64:67], v[16:17], off offset:3648
	v_lshl_add_u64 v[0:1], v[0:1], 0, s[8:9]
	s_movk_i32 s10, 0x2000
	global_load_dwordx4 v[40:43], v[0:1], off
	global_load_dwordx4 v[24:27], v14, s[16:17] offset:2816
	v_lshl_add_u64 v[2:3], v[0:1], 0, s[4:5]
	v_add_co_u32_e32 v0, vcc, s10, v18
	global_load_dwordx4 v[44:47], v[2:3], off
	s_nop 0
	v_addc_co_u32_e32 v1, vcc, 0, v19, vcc
	global_load_dwordx4 v[28:31], v[0:1], off offset:960
	v_lshl_add_u64 v[2:3], v[2:3], 0, s[8:9]
	global_load_dwordx4 v[48:51], v[2:3], off
	global_load_dwordx4 v[56:59], v[16:17], off offset:128
	v_accvgpr_write_b32 a0, v18
	v_accvgpr_write_b32 a1, v19
	v_lshl_add_u64 v[2:3], v[2:3], 0, s[4:5]
	global_load_dwordx4 v[16:19], v[0:1], off offset:2368
	global_load_dwordx4 v[52:55], v[2:3], off
	v_and_b32_e32 v4, 1, v4
	v_mov_b32_e32 v5, 0x318
	v_cmp_eq_u32_e32 vcc, 1, v4
	s_load_dwordx2 s[12:13], s[0:1], 0x38
	s_load_dwordx4 s[8:11], s[6:7], 0x0
	v_cndmask_b32_e32 v4, 0, v5, vcc
	v_lshlrev_b32_e32 v160, 4, v4
	v_add_u32_e32 v161, v160, v14
	v_cmp_gt_u16_e64 s[4:5], 44, v158
	s_waitcnt vmcnt(13)
	v_accvgpr_write_b32 a2, v20
	s_waitcnt vmcnt(12)
	v_mul_f64 v[4:5], v[8:9], v[70:71]
	v_mul_f64 v[14:15], v[6:7], v[70:71]
	v_fmac_f64_e32 v[4:5], v[6:7], v[68:69]
	v_fma_f64 v[6:7], v[8:9], v[68:69], -v[14:15]
	ds_write_b128 v161, v[4:7]
	s_waitcnt vmcnt(10)
	v_mul_f64 v[4:5], v[34:35], v[62:63]
	v_mul_f64 v[6:7], v[32:33], v[62:63]
	;; [unrolled: 1-line block ×4, first 2 shown]
	v_fmac_f64_e32 v[4:5], v[32:33], v[60:61]
	v_fma_f64 v[6:7], v[34:35], v[60:61], -v[6:7]
	v_fmac_f64_e32 v[8:9], v[10:11], v[20:21]
	v_fma_f64 v[10:11], v[12:13], v[20:21], -v[14:15]
	ds_write_b128 v161, v[4:7] offset:1408
	s_waitcnt vmcnt(6)
	v_mul_f64 v[4:5], v[42:43], v[26:27]
	v_mul_f64 v[6:7], v[40:41], v[26:27]
	ds_write_b128 v161, v[8:11] offset:6336
	v_mul_f64 v[8:9], v[38:39], v[66:67]
	v_mul_f64 v[10:11], v[36:37], v[66:67]
	v_fmac_f64_e32 v[4:5], v[40:41], v[24:25]
	v_fma_f64 v[6:7], v[42:43], v[24:25], -v[6:7]
	v_fmac_f64_e32 v[8:9], v[36:37], v[64:65]
	v_fma_f64 v[10:11], v[38:39], v[64:65], -v[10:11]
	ds_write_b128 v161, v[4:7] offset:2816
	s_waitcnt vmcnt(4)
	v_mul_f64 v[4:5], v[44:45], v[30:31]
	ds_write_b128 v161, v[8:11] offset:7744
	v_fma_f64 v[10:11], v[46:47], v[28:29], -v[4:5]
	s_waitcnt vmcnt(2)
	v_mul_f64 v[4:5], v[50:51], v[58:59]
	v_mul_f64 v[6:7], v[48:49], v[58:59]
	v_fmac_f64_e32 v[4:5], v[48:49], v[56:57]
	v_fma_f64 v[6:7], v[50:51], v[56:57], -v[6:7]
	v_accvgpr_write_b32 a32, v68
	v_accvgpr_write_b32 a20, v60
	;; [unrolled: 1-line block ×4, first 2 shown]
	v_mul_f64 v[8:9], v[46:47], v[30:31]
	v_accvgpr_write_b32 a10, v28
	v_accvgpr_write_b32 a16, v56
	ds_write_b128 v161, v[4:7] offset:4224
	s_waitcnt vmcnt(0)
	v_mul_f64 v[4:5], v[54:55], v[18:19]
	v_mul_f64 v[6:7], v[52:53], v[18:19]
	v_accvgpr_write_b32 a27, v19
	v_accvgpr_write_b32 a33, v69
	;; [unrolled: 1-line block ×16, first 2 shown]
	v_fmac_f64_e32 v[8:9], v[44:45], v[28:29]
	v_accvgpr_write_b32 a11, v29
	v_accvgpr_write_b32 a12, v30
	;; [unrolled: 1-line block ×6, first 2 shown]
	v_fmac_f64_e32 v[4:5], v[52:53], v[16:17]
	v_accvgpr_write_b32 a26, v18
	v_accvgpr_write_b32 a25, v17
	v_accvgpr_write_b32 a24, v16
	v_fma_f64 v[6:7], v[54:55], v[16:17], -v[6:7]
	ds_write_b128 v161, v[8:11] offset:9152
	ds_write_b128 v161, v[4:7] offset:10560
	s_and_saveexec_b64 s[6:7], s[4:5]
	s_cbranch_execz .LBB0_3
; %bb.2:
	v_accvgpr_read_b32 v7, a1
	v_accvgpr_read_b32 v6, a0
	v_add_co_u32_e32 v6, vcc, 0x1000, v6
	v_lshl_add_u64 v[10:11], s[14:15], 4, v[2:3]
	s_nop 0
	v_addc_co_u32_e32 v7, vcc, 0, v7, vcc
	global_load_dwordx4 v[2:5], v[10:11], off
	v_lshl_add_u64 v[14:15], s[2:3], 4, v[10:11]
	global_load_dwordx4 v[6:9], v[6:7], off offset:1536
	s_nop 0
	global_load_dwordx4 v[10:13], v[0:1], off offset:3776
	global_load_dwordx4 v[32:35], v[14:15], off
	s_waitcnt vmcnt(2)
	v_mul_f64 v[0:1], v[4:5], v[8:9]
	v_mul_f64 v[14:15], v[2:3], v[8:9]
	s_waitcnt vmcnt(0)
	v_mul_f64 v[8:9], v[34:35], v[12:13]
	v_mul_f64 v[12:13], v[32:33], v[12:13]
	v_fmac_f64_e32 v[0:1], v[2:3], v[6:7]
	v_fma_f64 v[2:3], v[4:5], v[6:7], -v[14:15]
	v_fmac_f64_e32 v[8:9], v[32:33], v[10:11]
	v_fma_f64 v[10:11], v[34:35], v[10:11], -v[12:13]
	ds_write_b128 v161, v[0:3] offset:5632
	ds_write_b128 v161, v[8:11] offset:11968
.LBB0_3:
	s_or_b64 exec, exec, s[6:7]
	s_waitcnt lgkmcnt(0)
	s_barrier
	ds_read_b128 v[64:67], v161
	ds_read_b128 v[52:55], v161 offset:1408
	ds_read_b128 v[68:71], v161 offset:6336
	;; [unrolled: 1-line block ×7, first 2 shown]
                                        ; implicit-def: $vgpr32_vgpr33
                                        ; implicit-def: $vgpr48_vgpr49
	s_and_saveexec_b64 s[2:3], s[4:5]
	s_cbranch_execz .LBB0_5
; %bb.4:
	ds_read_b128 v[32:35], v161 offset:5632
	ds_read_b128 v[48:51], v161 offset:11968
.LBB0_5:
	s_or_b64 exec, exec, s[2:3]
	s_load_dwordx2 s[0:1], s[0:1], 0x8
	s_mov_b64 s[2:3], 0x58
	v_lshl_add_u64 v[82:83], v[158:159], 0, s[2:3]
	s_mov_b64 s[2:3], 0xb0
	s_waitcnt lgkmcnt(0)
	v_add_f64 v[2:3], v[64:65], -v[68:69]
	v_add_f64 v[4:5], v[66:67], -v[70:71]
	v_lshl_add_u64 v[80:81], v[158:159], 0, s[2:3]
	v_lshlrev_b32_e32 v0, 1, v158
	s_mov_b64 s[2:3], 0x160
	v_fma_f64 v[6:7], v[64:65], 2.0, -v[2:3]
	v_fma_f64 v[8:9], v[66:67], 2.0, -v[4:5]
	v_lshl_add_u32 v96, v158, 5, v160
	v_lshl_add_u64 v[76:77], v[158:159], 0, s[2:3]
	v_add_f64 v[10:11], v[52:53], -v[60:61]
	v_add_f64 v[12:13], v[54:55], -v[62:63]
	;; [unrolled: 1-line block ×8, first 2 shown]
	s_barrier
	ds_write_b128 v96, v[6:9]
	ds_write_b128 v96, v[2:5] offset:16
	v_add_u32_e32 v3, 0x210, v0
	v_fma_f64 v[52:53], v[52:53], 2.0, -v[10:11]
	v_fma_f64 v[54:55], v[54:55], 2.0, -v[12:13]
	;; [unrolled: 1-line block ×8, first 2 shown]
	v_lshlrev_b32_e32 v1, 1, v82
	v_lshl_add_u32 v97, v82, 5, v160
	v_lshlrev_b32_e32 v2, 1, v80
	v_lshl_add_u32 v98, v80, 5, v160
	v_lshl_add_u32 v99, v3, 4, v160
	;; [unrolled: 1-line block ×3, first 2 shown]
	ds_write_b128 v97, v[52:55]
	ds_write_b128 v97, v[10:13] offset:16
	ds_write_b128 v98, v[44:47]
	ds_write_b128 v98, v[56:59] offset:16
	;; [unrolled: 2-line block ×3, first 2 shown]
	s_and_saveexec_b64 s[2:3], s[4:5]
	s_cbranch_execz .LBB0_7
; %bb.6:
	ds_write_b128 v95, v[36:39]
	ds_write_b128 v95, v[40:43] offset:16
.LBB0_7:
	s_or_b64 exec, exec, s[2:3]
	s_waitcnt lgkmcnt(0)
	s_barrier
	ds_read_b128 v[48:51], v161
	ds_read_b128 v[52:55], v161 offset:1408
	ds_read_b128 v[64:67], v161 offset:6336
	;; [unrolled: 1-line block ×7, first 2 shown]
	s_and_saveexec_b64 s[2:3], s[4:5]
	s_cbranch_execz .LBB0_9
; %bb.8:
	ds_read_b128 v[36:39], v161 offset:5632
	ds_read_b128 v[40:43], v161 offset:11968
.LBB0_9:
	s_or_b64 exec, exec, s[2:3]
	v_and_b32_e32 v93, 1, v158
	v_lshlrev_b32_e32 v4, 4, v93
	global_load_dwordx4 v[32:35], v4, s[0:1]
	s_movk_i32 s2, 0xfc
	s_movk_i32 s3, 0x1fc
	;; [unrolled: 1-line block ×3, first 2 shown]
	v_and_or_b32 v4, v0, s2, v93
	v_and_or_b32 v5, v1, s3, v93
	;; [unrolled: 1-line block ×4, first 2 shown]
	v_lshl_add_u32 v27, v4, 4, v160
	v_lshl_add_u32 v26, v5, 4, v160
	;; [unrolled: 1-line block ×4, first 2 shown]
	v_accvgpr_write_b32 a44, v27
	v_accvgpr_write_b32 a43, v26
	;; [unrolled: 1-line block ×4, first 2 shown]
	v_lshlrev_b32_e32 v92, 1, v76
	s_waitcnt lgkmcnt(0)
	s_barrier
	s_waitcnt vmcnt(0)
	v_mul_f64 v[4:5], v[66:67], v[34:35]
	v_mul_f64 v[6:7], v[64:65], v[34:35]
	;; [unrolled: 1-line block ×10, first 2 shown]
	v_fma_f64 v[4:5], v[64:65], v[32:33], -v[4:5]
	v_fmac_f64_e32 v[6:7], v[66:67], v[32:33]
	v_fma_f64 v[22:23], v[40:41], v[32:33], -v[22:23]
	v_fmac_f64_e32 v[24:25], v[42:43], v[32:33]
	;; [unrolled: 2-line block ×5, first 2 shown]
	v_add_f64 v[4:5], v[48:49], -v[4:5]
	v_add_f64 v[6:7], v[50:51], -v[6:7]
	;; [unrolled: 1-line block ×10, first 2 shown]
	v_fma_f64 v[48:49], v[48:49], 2.0, -v[4:5]
	v_fma_f64 v[50:51], v[50:51], 2.0, -v[6:7]
	;; [unrolled: 1-line block ×10, first 2 shown]
	ds_write_b128 v27, v[4:7] offset:32
	ds_write_b128 v27, v[48:51]
	ds_write_b128 v26, v[52:55]
	ds_write_b128 v26, v[8:11] offset:32
	ds_write_b128 v17, v[56:59]
	ds_write_b128 v17, v[12:15] offset:32
	;; [unrolled: 2-line block ×3, first 2 shown]
	s_and_saveexec_b64 s[2:3], s[4:5]
	s_cbranch_execz .LBB0_11
; %bb.10:
	v_and_or_b32 v4, v92, s6, v93
	v_lshl_add_u32 v4, v4, 4, v160
	ds_write_b128 v4, v[40:43]
	ds_write_b128 v4, v[44:47] offset:32
.LBB0_11:
	s_or_b64 exec, exec, s[2:3]
	s_waitcnt lgkmcnt(0)
	s_barrier
	ds_read_b128 v[48:51], v161
	ds_read_b128 v[52:55], v161 offset:1408
	ds_read_b128 v[68:71], v161 offset:6336
	;; [unrolled: 1-line block ×7, first 2 shown]
	s_and_saveexec_b64 s[2:3], s[4:5]
	s_cbranch_execz .LBB0_13
; %bb.12:
	ds_read_b128 v[40:43], v161 offset:5632
	ds_read_b128 v[44:47], v161 offset:11968
.LBB0_13:
	s_or_b64 exec, exec, s[2:3]
	v_and_b32_e32 v94, 3, v158
	v_lshlrev_b32_e32 v4, 4, v94
	global_load_dwordx4 v[36:39], v4, s[0:1] offset:32
	s_movk_i32 s2, 0xf8
	s_movk_i32 s3, 0x1f8
	s_movk_i32 s6, 0x3f8
	v_and_or_b32 v0, v0, s2, v94
	v_and_or_b32 v1, v1, s3, v94
	;; [unrolled: 1-line block ×4, first 2 shown]
	v_lshl_add_u32 v23, v0, 4, v160
	v_lshl_add_u32 v22, v1, 4, v160
	;; [unrolled: 1-line block ×4, first 2 shown]
	v_mov_b32_e32 v81, 0
	v_accvgpr_write_b32 a48, v23
	v_accvgpr_write_b32 a47, v22
	v_accvgpr_write_b32 a46, v17
	v_accvgpr_write_b32 a45, v16
	s_waitcnt lgkmcnt(0)
	s_barrier
	s_waitcnt vmcnt(0)
	v_mul_f64 v[0:1], v[70:71], v[38:39]
	v_mul_f64 v[2:3], v[68:69], v[38:39]
	;; [unrolled: 1-line block ×10, first 2 shown]
	v_fma_f64 v[0:1], v[68:69], v[36:37], -v[0:1]
	v_fmac_f64_e32 v[2:3], v[70:71], v[36:37]
	v_fma_f64 v[4:5], v[64:65], v[36:37], -v[4:5]
	v_fmac_f64_e32 v[6:7], v[66:67], v[36:37]
	v_fma_f64 v[8:9], v[76:77], v[36:37], -v[8:9]
	v_fmac_f64_e32 v[10:11], v[78:79], v[36:37]
	v_fma_f64 v[12:13], v[72:73], v[36:37], -v[12:13]
	v_fmac_f64_e32 v[14:15], v[74:75], v[36:37]
	v_fma_f64 v[18:19], v[44:45], v[36:37], -v[18:19]
	v_fmac_f64_e32 v[20:21], v[46:47], v[36:37]
	v_add_f64 v[0:1], v[48:49], -v[0:1]
	v_add_f64 v[2:3], v[50:51], -v[2:3]
	;; [unrolled: 1-line block ×10, first 2 shown]
	v_fma_f64 v[44:45], v[48:49], 2.0, -v[0:1]
	v_fma_f64 v[46:47], v[50:51], 2.0, -v[2:3]
	;; [unrolled: 1-line block ×8, first 2 shown]
	ds_write_b128 v23, v[0:3] offset:64
	ds_write_b128 v23, v[44:47]
	ds_write_b128 v22, v[48:51]
	ds_write_b128 v22, v[4:7] offset:64
	ds_write_b128 v17, v[52:55]
	ds_write_b128 v17, v[8:11] offset:64
	ds_write_b128 v16, v[56:59]
	ds_write_b128 v16, v[12:15] offset:64
	s_and_saveexec_b64 s[2:3], s[4:5]
	s_cbranch_execz .LBB0_15
; %bb.14:
	v_and_or_b32 v4, v92, s6, v94
	v_fma_f64 v[2:3], v[42:43], 2.0, -v[114:115]
	v_fma_f64 v[0:1], v[40:41], 2.0, -v[112:113]
	v_lshl_add_u32 v4, v4, 4, v160
	ds_write_b128 v4, v[0:3]
	ds_write_b128 v4, v[112:115] offset:64
.LBB0_15:
	s_or_b64 exec, exec, s[2:3]
	v_and_b32_e32 v16, 7, v158
	v_lshlrev_b32_e32 v0, 5, v16
	s_waitcnt lgkmcnt(0)
	s_barrier
	global_load_dwordx4 v[44:47], v0, s[0:1] offset:96
	global_load_dwordx4 v[40:43], v0, s[0:1] offset:112
	ds_read_b128 v[0:3], v161
	ds_read_b128 v[4:7], v161 offset:1408
	ds_read_b128 v[8:11], v161 offset:8448
	;; [unrolled: 1-line block ×8, first 2 shown]
	v_lshrrev_b32_e32 v17, 3, v158
	s_mov_b32 s2, 0xe8584caa
	v_mul_u32_u24_e32 v17, 24, v17
	s_mov_b32 s3, 0x3febb67a
	s_mov_b32 s7, 0xbfebb67a
	;; [unrolled: 1-line block ×3, first 2 shown]
	v_or_b32_e32 v17, v17, v16
	v_lshl_add_u32 v17, v17, 4, v160
	s_waitcnt lgkmcnt(0)
	s_barrier
	s_movk_i32 s14, 0xab
	v_accvgpr_write_b32 a49, v17
                                        ; implicit-def: $vgpr152_vgpr153
	s_waitcnt vmcnt(1)
	v_mul_f64 v[18:19], v[54:55], v[46:47]
	v_mul_f64 v[20:21], v[52:53], v[46:47]
	s_waitcnt vmcnt(0)
	v_mul_f64 v[22:23], v[10:11], v[42:43]
	v_mul_f64 v[24:25], v[8:9], v[42:43]
	;; [unrolled: 1-line block ×5, first 2 shown]
	v_fma_f64 v[18:19], v[52:53], v[44:45], -v[18:19]
	v_fmac_f64_e32 v[20:21], v[54:55], v[44:45]
	v_fma_f64 v[8:9], v[8:9], v[40:41], -v[22:23]
	v_fmac_f64_e32 v[24:25], v[10:11], v[40:41]
	v_mul_f64 v[68:69], v[12:13], v[42:43]
	v_fma_f64 v[10:11], v[56:57], v[44:45], -v[26:27]
	v_fmac_f64_e32 v[28:29], v[58:59], v[44:45]
	v_fma_f64 v[12:13], v[12:13], v[40:41], -v[30:31]
	v_add_f64 v[30:31], v[18:19], v[8:9]
	v_add_f64 v[58:59], v[20:21], -v[24:25]
	v_add_f64 v[52:53], v[2:3], v[20:21]
	v_add_f64 v[20:21], v[20:21], v[24:25]
	v_mul_f64 v[74:75], v[66:67], v[42:43]
	v_add_f64 v[26:27], v[0:1], v[18:19]
	v_add_f64 v[18:19], v[18:19], -v[8:9]
	v_add_f64 v[56:57], v[10:11], v[12:13]
	v_fmac_f64_e32 v[0:1], -0.5, v[30:31]
	v_fmac_f64_e32 v[2:3], -0.5, v[20:21]
	v_mul_f64 v[76:77], v[64:65], v[42:43]
	v_fma_f64 v[22:23], v[64:65], v[40:41], -v[74:75]
	v_add_f64 v[54:55], v[4:5], v[10:11]
	v_add_f64 v[64:65], v[10:11], -v[12:13]
	v_add_f64 v[8:9], v[26:27], v[8:9]
	v_add_f64 v[10:11], v[52:53], v[24:25]
	v_fmac_f64_e32 v[4:5], -0.5, v[56:57]
	v_fma_f64 v[56:57], s[2:3], v[58:59], v[0:1]
	v_fmac_f64_e32 v[0:1], s[6:7], v[58:59]
	v_fma_f64 v[58:59], s[6:7], v[18:19], v[2:3]
	v_fmac_f64_e32 v[2:3], s[2:3], v[18:19]
	v_mul_f64 v[70:71], v[62:63], v[46:47]
	v_mul_f64 v[72:73], v[60:61], v[46:47]
	v_fmac_f64_e32 v[68:69], v[14:15], v[40:41]
	ds_write_b128 v17, v[8:11]
	ds_write_b128 v17, v[56:59] offset:128
	ds_write_b128 v17, v[0:3] offset:256
	v_lshrrev_b32_e32 v0, 3, v82
	v_fma_f64 v[14:15], v[60:61], v[44:45], -v[70:71]
	v_fmac_f64_e32 v[72:73], v[62:63], v[44:45]
	v_add_f64 v[62:63], v[28:29], -v[68:69]
	v_add_f64 v[60:61], v[6:7], v[28:29]
	v_add_f64 v[28:29], v[28:29], v[68:69]
	v_mul_u32_u24_e32 v0, 24, v0
	v_fmac_f64_e32 v[6:7], -0.5, v[28:29]
	v_or_b32_e32 v0, v0, v16
	v_fmac_f64_e32 v[76:77], v[66:67], v[40:41]
	v_add_f64 v[66:67], v[48:49], v[14:15]
	v_add_f64 v[70:71], v[14:15], v[22:23]
	v_add_f64 v[84:85], v[14:15], -v[22:23]
	v_add_f64 v[12:13], v[54:55], v[12:13]
	v_add_f64 v[14:15], v[60:61], v[68:69]
	v_fma_f64 v[60:61], s[2:3], v[62:63], v[4:5]
	v_fmac_f64_e32 v[4:5], s[6:7], v[62:63]
	v_fma_f64 v[62:63], s[6:7], v[64:65], v[6:7]
	v_fmac_f64_e32 v[6:7], s[2:3], v[64:65]
	v_lshl_add_u32 v0, v0, 4, v160
	ds_write_b128 v0, v[12:15]
	ds_write_b128 v0, v[60:63] offset:128
	v_accvgpr_write_b32 a50, v0
	ds_write_b128 v0, v[4:7] offset:256
	v_lshrrev_b32_e32 v0, 3, v80
	v_add_f64 v[74:75], v[72:73], -v[76:77]
	v_add_f64 v[78:79], v[50:51], v[72:73]
	v_add_f64 v[72:73], v[72:73], v[76:77]
	v_mul_u32_u24_e32 v0, 24, v0
	v_fmac_f64_e32 v[48:49], -0.5, v[70:71]
	v_fmac_f64_e32 v[50:51], -0.5, v[72:73]
	v_or_b32_e32 v0, v0, v16
	v_add_f64 v[52:53], v[66:67], v[22:23]
	v_add_f64 v[54:55], v[78:79], v[76:77]
	v_fma_f64 v[64:65], s[2:3], v[74:75], v[48:49]
	v_fmac_f64_e32 v[48:49], s[6:7], v[74:75]
	v_fma_f64 v[66:67], s[6:7], v[84:85], v[50:51]
	v_fmac_f64_e32 v[50:51], s[2:3], v[84:85]
	v_lshl_add_u32 v0, v0, 4, v160
	ds_write_b128 v0, v[52:55]
	ds_write_b128 v0, v[64:67] offset:128
	v_accvgpr_write_b32 a51, v0
	ds_write_b128 v0, v[48:51] offset:256
	v_mul_lo_u16_sdwa v0, v158, s14 dst_sel:DWORD dst_unused:UNUSED_PAD src0_sel:BYTE_0 src1_sel:DWORD
	v_lshrrev_b16_e32 v16, 12, v0
	v_mul_lo_u16_e32 v0, 24, v16
	v_sub_u16_e32 v17, v158, v0
	v_mov_b32_e32 v0, 5
	v_lshlrev_b32_sdwa v1, v0, v17 dst_sel:DWORD dst_unused:UNUSED_PAD src0_sel:DWORD src1_sel:BYTE_0
	s_waitcnt lgkmcnt(0)
	s_barrier
	global_load_dwordx4 v[48:51], v1, s[0:1] offset:368
	global_load_dwordx4 v[52:55], v1, s[0:1] offset:352
	v_mul_lo_u16_sdwa v1, v82, s14 dst_sel:DWORD dst_unused:UNUSED_PAD src0_sel:BYTE_0 src1_sel:DWORD
	v_lshrrev_b16_e32 v30, 12, v1
	v_mul_lo_u16_e32 v1, 24, v30
	v_sub_u16_e32 v31, v82, v1
	v_lshlrev_b32_sdwa v0, v0, v31 dst_sel:DWORD dst_unused:UNUSED_PAD src0_sel:DWORD src1_sel:BYTE_0
	global_load_dwordx4 v[56:59], v0, s[0:1] offset:368
	global_load_dwordx4 v[64:67], v0, s[0:1] offset:352
	s_mov_b32 s14, 0xaaab
	v_mul_u32_u24_sdwa v0, v80, s14 dst_sel:DWORD dst_unused:UNUSED_PAD src0_sel:WORD_0 src1_sel:DWORD
	v_lshrrev_b32_e32 v90, 20, v0
	v_mul_lo_u16_e32 v0, 24, v90
	v_sub_u16_e32 v91, v80, v0
	v_lshlrev_b16_e32 v80, 5, v91
	v_lshl_add_u64 v[0:1], s[0:1], 0, v[80:81]
	global_load_dwordx4 v[76:79], v[0:1], off offset:352
	global_load_dwordx4 v[72:75], v[0:1], off offset:368
	ds_read_b128 v[120:123], v161
	ds_read_b128 v[124:127], v161 offset:1408
	ds_read_b128 v[0:3], v161 offset:8448
	;; [unrolled: 1-line block ×8, first 2 shown]
	s_waitcnt lgkmcnt(0)
	s_barrier
	s_waitcnt vmcnt(5)
	v_mul_f64 v[22:23], v[2:3], v[50:51]
	s_waitcnt vmcnt(4)
	v_mul_f64 v[18:19], v[10:11], v[54:55]
	v_mul_f64 v[20:21], v[8:9], v[54:55]
	v_fma_f64 v[8:9], v[8:9], v[52:53], -v[18:19]
	v_mul_f64 v[24:25], v[0:1], v[50:51]
	v_fma_f64 v[0:1], v[0:1], v[48:49], -v[22:23]
	v_fmac_f64_e32 v[20:21], v[10:11], v[52:53]
	s_waitcnt vmcnt(2)
	v_mul_f64 v[28:29], v[12:13], v[66:67]
	v_mul_f64 v[26:27], v[14:15], v[66:67]
	v_fmac_f64_e32 v[28:29], v[14:15], v[64:65]
	v_add_f64 v[14:15], v[120:121], v[8:9]
	v_fmac_f64_e32 v[24:25], v[2:3], v[48:49]
	v_add_f64 v[116:117], v[14:15], v[0:1]
	v_add_f64 v[14:15], v[8:9], v[0:1]
	v_fmac_f64_e32 v[120:121], -0.5, v[14:15]
	v_add_f64 v[14:15], v[20:21], -v[24:25]
	v_fma_f64 v[128:129], s[2:3], v[14:15], v[120:121]
	v_fmac_f64_e32 v[120:121], s[6:7], v[14:15]
	v_add_f64 v[14:15], v[122:123], v[20:21]
	v_add_f64 v[118:119], v[14:15], v[24:25]
	;; [unrolled: 1-line block ×3, first 2 shown]
	v_mul_f64 v[80:81], v[6:7], v[58:59]
	v_fma_f64 v[2:3], v[12:13], v[64:65], -v[26:27]
	v_fmac_f64_e32 v[122:123], -0.5, v[14:15]
	v_add_f64 v[0:1], v[8:9], -v[0:1]
	v_mul_f64 v[82:83], v[4:5], v[58:59]
	v_fma_f64 v[4:5], v[4:5], v[56:57], -v[80:81]
	v_fma_f64 v[130:131], s[6:7], v[0:1], v[122:123]
	v_fmac_f64_e32 v[122:123], s[2:3], v[0:1]
	v_add_f64 v[0:1], v[124:125], v[2:3]
	v_fmac_f64_e32 v[82:83], v[6:7], v[56:57]
	v_add_f64 v[136:137], v[0:1], v[4:5]
	v_add_f64 v[0:1], v[2:3], v[4:5]
	v_fmac_f64_e32 v[124:125], -0.5, v[0:1]
	v_add_f64 v[0:1], v[28:29], -v[82:83]
	v_fma_f64 v[140:141], s[2:3], v[0:1], v[124:125]
	v_fmac_f64_e32 v[124:125], s[6:7], v[0:1]
	v_add_f64 v[0:1], v[126:127], v[28:29]
	s_waitcnt vmcnt(1)
	v_mul_f64 v[84:85], v[62:63], v[78:79]
	v_add_f64 v[138:139], v[0:1], v[82:83]
	v_add_f64 v[0:1], v[28:29], v[82:83]
	s_waitcnt vmcnt(0)
	v_mul_f64 v[88:89], v[70:71], v[74:75]
	v_fma_f64 v[6:7], v[60:61], v[76:77], -v[84:85]
	v_fmac_f64_e32 v[126:127], -0.5, v[0:1]
	v_add_f64 v[0:1], v[2:3], -v[4:5]
	v_mul_f64 v[86:87], v[60:61], v[78:79]
	v_fma_f64 v[10:11], v[68:69], v[72:73], -v[88:89]
	v_mul_f64 v[12:13], v[68:69], v[74:75]
	v_fma_f64 v[142:143], s[6:7], v[0:1], v[126:127]
	v_fmac_f64_e32 v[126:127], s[2:3], v[0:1]
	v_add_f64 v[0:1], v[132:133], v[6:7]
	v_fmac_f64_e32 v[86:87], v[62:63], v[76:77]
	v_fmac_f64_e32 v[12:13], v[70:71], v[72:73]
	v_add_f64 v[144:145], v[0:1], v[10:11]
	v_add_f64 v[0:1], v[6:7], v[10:11]
	v_fmac_f64_e32 v[132:133], -0.5, v[0:1]
	v_add_f64 v[0:1], v[86:87], -v[12:13]
	v_fma_f64 v[148:149], s[2:3], v[0:1], v[132:133]
	v_fmac_f64_e32 v[132:133], s[6:7], v[0:1]
	v_add_f64 v[0:1], v[134:135], v[86:87]
	v_add_f64 v[146:147], v[0:1], v[12:13]
	v_add_f64 v[0:1], v[86:87], v[12:13]
	v_fmac_f64_e32 v[134:135], -0.5, v[0:1]
	v_add_f64 v[0:1], v[6:7], -v[10:11]
	v_fma_f64 v[150:151], s[6:7], v[0:1], v[134:135]
	v_fmac_f64_e32 v[134:135], s[2:3], v[0:1]
	v_mul_u32_u24_e32 v0, 0x48, v16
	v_add_u32_sdwa v0, v0, v17 dst_sel:DWORD dst_unused:UNUSED_PAD src0_sel:DWORD src1_sel:BYTE_0
	v_lshl_add_u32 v84, v0, 4, v160
	v_mul_u32_u24_e32 v0, 0x48, v30
	s_movk_i32 s2, 0x48
	v_add_u32_sdwa v0, v0, v31 dst_sel:DWORD dst_unused:UNUSED_PAD src0_sel:DWORD src1_sel:BYTE_0
	v_lshl_add_u32 v85, v0, 4, v160
	v_mad_legacy_u16 v0, v90, s2, v91
	v_lshl_add_u32 v159, v0, 4, v160
	v_cmp_gt_u16_e64 s[2:3], s2, v158
	ds_write_b128 v84, v[116:119]
	ds_write_b128 v84, v[128:131] offset:384
	ds_write_b128 v84, v[120:123] offset:768
	ds_write_b128 v85, v[136:139]
	ds_write_b128 v85, v[140:143] offset:384
	ds_write_b128 v85, v[124:127] offset:768
	ds_write_b128 v159, v[144:147]
	ds_write_b128 v159, v[148:151] offset:384
	ds_write_b128 v159, v[132:135] offset:768
	s_waitcnt lgkmcnt(0)
	s_barrier
	s_and_saveexec_b64 s[6:7], s[2:3]
	s_cbranch_execz .LBB0_17
; %bb.16:
	ds_read_b128 v[116:119], v161
	ds_read_b128 v[128:131], v161 offset:1152
	ds_read_b128 v[120:123], v161 offset:2304
	;; [unrolled: 1-line block ×10, first 2 shown]
.LBB0_17:
	s_or_b64 exec, exec, s[6:7]
	v_add_u32_e32 v0, 0xffffffb8, v158
	v_cndmask_b32_e64 v0, v0, v158, s[2:3]
	v_mul_hi_i32_i24_e32 v1, 0xa0, v0
	v_mul_i32_i24_e32 v0, 0xa0, v0
	v_lshl_add_u64 v[0:1], s[0:1], 0, v[0:1]
	global_load_dwordx4 v[88:91], v[0:1], off offset:1120
	global_load_dwordx4 v[22:25], v[0:1], off offset:1136
	;; [unrolled: 1-line block ×10, first 2 shown]
	s_mov_b32 s6, 0xf8bb580b
	s_mov_b32 s20, 0x8eee2c13
	;; [unrolled: 1-line block ×28, first 2 shown]
	s_waitcnt vmcnt(9) lgkmcnt(9)
	v_mul_f64 v[0:1], v[130:131], v[90:91]
	v_mul_f64 v[162:163], v[128:129], v[90:91]
	s_waitcnt vmcnt(8) lgkmcnt(8)
	v_mul_f64 v[2:3], v[122:123], v[24:25]
	v_mul_f64 v[164:165], v[120:121], v[24:25]
	v_fma_f64 v[128:129], v[128:129], v[88:89], -v[0:1]
	s_waitcnt vmcnt(4) lgkmcnt(4)
	v_mul_f64 v[172:173], v[144:145], v[106:107]
	v_mul_f64 v[10:11], v[146:147], v[106:107]
	s_waitcnt vmcnt(2) lgkmcnt(2)
	v_mul_f64 v[176:177], v[132:133], v[82:83]
	s_waitcnt vmcnt(1) lgkmcnt(1)
	;; [unrolled: 2-line block ×3, first 2 shown]
	v_mul_f64 v[20:21], v[154:155], v[70:71]
	v_mul_f64 v[180:181], v[152:153], v[70:71]
	;; [unrolled: 1-line block ×3, first 2 shown]
	v_fmac_f64_e32 v[162:163], v[130:131], v[88:89]
	v_fmac_f64_e32 v[172:173], v[146:147], v[104:105]
	v_fma_f64 v[146:147], v[152:153], v[68:69], -v[20:21]
	v_fmac_f64_e32 v[180:181], v[154:155], v[68:69]
	v_mul_f64 v[166:167], v[136:137], v[28:29]
	v_mul_f64 v[168:169], v[140:141], v[62:63]
	;; [unrolled: 1-line block ×4, first 2 shown]
	v_fma_f64 v[130:131], v[120:121], v[22:23], -v[2:3]
	v_fmac_f64_e32 v[164:165], v[122:123], v[22:23]
	v_fmac_f64_e32 v[176:177], v[134:135], v[80:81]
	v_fma_f64 v[134:135], v[112:113], v[182:183], -v[18:19]
	v_accvgpr_write_b32 a78, v182
	v_fmac_f64_e32 v[178:179], v[114:115], v[182:183]
	v_add_f64 v[192:193], v[128:129], -v[146:147]
	v_add_f64 v[200:201], v[162:163], -v[180:181]
	v_mul_f64 v[4:5], v[138:139], v[28:29]
	v_mul_f64 v[6:7], v[142:143], v[62:63]
	;; [unrolled: 1-line block ×3, first 2 shown]
	v_fmac_f64_e32 v[166:167], v[138:139], v[26:27]
	v_fmac_f64_e32 v[168:169], v[142:143], v[60:61]
	v_fma_f64 v[142:143], v[144:145], v[104:105], -v[10:11]
	v_fma_f64 v[144:145], v[148:149], v[100:101], -v[12:13]
	v_accvgpr_write_b32 a79, v183
	v_accvgpr_write_b32 a80, v184
	;; [unrolled: 1-line block ×3, first 2 shown]
	v_add_f64 v[186:187], v[128:129], v[146:147]
	v_add_f64 v[206:207], v[162:163], v[180:181]
	v_add_f64 v[202:203], v[130:131], -v[134:135]
	v_add_f64 v[208:209], v[164:165], -v[178:179]
	v_mul_f64 v[148:149], v[200:201], s[6:7]
	v_mul_f64 v[152:153], v[192:193], s[6:7]
	;; [unrolled: 1-line block ×4, first 2 shown]
	v_fma_f64 v[136:137], v[136:137], v[26:27], -v[4:5]
	v_fmac_f64_e32 v[174:175], v[150:151], v[100:101]
	v_fma_f64 v[132:133], v[132:133], v[80:81], -v[14:15]
	v_add_f64 v[194:195], v[130:131], v[134:135]
	v_add_f64 v[212:213], v[164:165], v[178:179]
	v_mul_f64 v[150:151], v[208:209], s[20:21]
	v_mul_f64 v[154:155], v[202:203], s[20:21]
	v_fma_f64 v[0:1], s[0:1], v[186:187], v[148:149]
	v_fma_f64 v[2:3], v[206:207], s[0:1], -v[152:153]
	v_fma_f64 v[4:5], s[14:15], v[186:187], v[182:183]
	v_add_f64 v[228:229], v[166:167], -v[176:177]
	v_fma_f64 v[138:139], v[140:141], v[60:61], -v[6:7]
	v_fma_f64 v[140:141], v[124:125], v[108:109], -v[8:9]
	v_fma_f64 v[8:9], s[14:15], v[194:195], v[150:151]
	v_add_f64 v[0:1], v[116:117], v[0:1]
	v_add_f64 v[2:3], v[118:119], v[2:3]
	;; [unrolled: 1-line block ×3, first 2 shown]
	v_fma_f64 v[4:5], v[212:213], s[14:15], -v[154:155]
	v_add_f64 v[214:215], v[136:137], v[132:133]
	v_add_f64 v[218:219], v[136:137], -v[132:133]
	v_mul_f64 v[190:191], v[228:229], s[22:23]
	v_add_f64 v[0:1], v[8:9], v[0:1]
	v_add_f64 v[2:3], v[4:5], v[2:3]
	;; [unrolled: 1-line block ×3, first 2 shown]
	v_mul_f64 v[196:197], v[218:219], s[22:23]
	v_fma_f64 v[4:5], s[18:19], v[214:215], v[190:191]
	v_add_f64 v[244:245], v[168:169], -v[174:175]
	v_add_f64 v[0:1], v[4:5], v[0:1]
	v_fma_f64 v[4:5], v[238:239], s[18:19], -v[196:197]
	v_add_f64 v[224:225], v[138:139], v[144:145]
	v_add_f64 v[234:235], v[138:139], -v[144:145]
	v_mul_f64 v[198:199], v[244:245], s[28:29]
	v_mul_f64 v[170:171], v[124:125], v[110:111]
	v_add_f64 v[2:3], v[4:5], v[2:3]
	v_add_f64 v[252:253], v[168:169], v[174:175]
	v_mul_f64 v[204:205], v[234:235], s[28:29]
	v_fma_f64 v[4:5], s[26:27], v[224:225], v[198:199]
	v_fmac_f64_e32 v[170:171], v[126:127], v[108:109]
	v_add_f64 v[0:1], v[4:5], v[0:1]
	v_fma_f64 v[4:5], v[252:253], s[26:27], -v[204:205]
	v_add_f64 v[2:3], v[4:5], v[2:3]
	v_add_f64 v[4:5], v[170:171], -v[172:173]
	v_add_f64 v[240:241], v[140:141], v[142:143]
	v_add_f64 v[250:251], v[140:141], -v[142:143]
	v_mul_f64 v[210:211], v[4:5], s[36:37]
	v_mul_f64 v[184:185], v[192:193], s[20:21]
	v_add_f64 v[12:13], v[170:171], v[172:173]
	v_mul_f64 v[216:217], v[250:251], s[36:37]
	v_fma_f64 v[8:9], s[30:31], v[240:241], v[210:211]
	v_fma_f64 v[6:7], v[206:207], s[14:15], -v[184:185]
	v_mul_f64 v[188:189], v[208:209], s[28:29]
	v_add_f64 v[112:113], v[8:9], v[0:1]
	v_fma_f64 v[0:1], v[12:13], s[30:31], -v[216:217]
	v_mul_f64 v[222:223], v[202:203], s[28:29]
	v_add_f64 v[6:7], v[118:119], v[6:7]
	v_add_f64 v[114:115], v[0:1], v[2:3]
	v_fma_f64 v[0:1], s[26:27], v[194:195], v[188:189]
	v_fma_f64 v[2:3], v[212:213], s[26:27], -v[222:223]
	v_mul_f64 v[220:221], v[228:229], s[34:35]
	v_add_f64 v[0:1], v[0:1], v[10:11]
	v_add_f64 v[2:3], v[2:3], v[6:7]
	v_fma_f64 v[6:7], s[30:31], v[214:215], v[220:221]
	v_mul_f64 v[230:231], v[218:219], s[34:35]
	v_add_f64 v[0:1], v[6:7], v[0:1]
	v_fma_f64 v[6:7], v[238:239], s[30:31], -v[230:231]
	v_mul_f64 v[226:227], v[244:245], s[38:39]
	v_add_f64 v[2:3], v[6:7], v[2:3]
	v_fma_f64 v[6:7], s[18:19], v[224:225], v[226:227]
	v_mul_f64 v[236:237], v[234:235], s[38:39]
	v_add_f64 v[0:1], v[6:7], v[0:1]
	v_fma_f64 v[6:7], v[252:253], s[18:19], -v[236:237]
	v_mul_f64 v[232:233], v[4:5], s[42:43]
	;; [unrolled: 6-line block ×3, first 2 shown]
	v_add_f64 v[122:123], v[0:1], v[2:3]
	v_fma_f64 v[0:1], s[18:19], v[186:187], v[246:247]
	v_mul_f64 v[248:249], v[208:209], s[34:35]
	v_add_f64 v[0:1], v[116:117], v[0:1]
	v_fma_f64 v[2:3], s[30:31], v[194:195], v[248:249]
	v_mul_f64 v[156:157], v[192:193], s[22:23]
	v_add_f64 v[2:3], v[2:3], v[0:1]
	v_fma_f64 v[0:1], v[206:207], s[18:19], -v[156:157]
	v_add_f64 v[6:7], v[118:119], v[0:1]
	v_mul_f64 v[0:1], v[202:203], s[34:35]
	v_fma_f64 v[8:9], v[212:213], s[30:31], -v[0:1]
	v_mul_f64 v[254:255], v[228:229], s[40:41]
	v_add_f64 v[6:7], v[8:9], v[6:7]
	v_fma_f64 v[8:9], s[14:15], v[214:215], v[254:255]
	v_add_f64 v[10:11], v[8:9], v[2:3]
	v_mul_f64 v[8:9], v[218:219], s[40:41]
	v_fma_f64 v[2:3], v[238:239], s[14:15], -v[8:9]
	v_add_f64 v[6:7], v[2:3], v[6:7]
	v_mul_f64 v[2:3], v[244:245], s[6:7]
	v_fma_f64 v[14:15], s[0:1], v[224:225], v[2:3]
	v_add_f64 v[14:15], v[14:15], v[10:11]
	v_mul_f64 v[10:11], v[234:235], s[6:7]
	v_fma_f64 v[18:19], v[252:253], s[0:1], -v[10:11]
	v_add_f64 v[18:19], v[18:19], v[6:7]
	v_mul_f64 v[6:7], v[4:5], s[28:29]
	v_fma_f64 v[20:21], s[26:27], v[240:241], v[6:7]
	v_add_f64 v[124:125], v[20:21], v[14:15]
	v_mul_f64 v[14:15], v[250:251], s[28:29]
	v_accvgpr_write_b32 a59, v25
	v_accvgpr_write_b32 a63, v29
	;; [unrolled: 1-line block ×5, first 2 shown]
	v_fma_f64 v[20:21], v[12:13], s[26:27], -v[14:15]
	v_accvgpr_write_b32 a58, v24
	v_accvgpr_write_b32 a57, v23
	;; [unrolled: 1-line block ×15, first 2 shown]
	v_add_f64 v[126:127], v[20:21], v[18:19]
	s_and_saveexec_b64 s[24:25], s[2:3]
	s_cbranch_execz .LBB0_19
; %bb.18:
	v_mul_f64 v[18:19], v[194:195], s[14:15]
	v_accvgpr_write_b32 a89, v19
	v_accvgpr_write_b32 a88, v18
	v_mul_f64 v[18:19], v[212:213], s[14:15]
	v_accvgpr_write_b32 a95, v19
	v_accvgpr_write_b32 a94, v18
	v_mul_f64 v[18:19], v[194:195], s[26:27]
	v_accvgpr_write_b32 a105, v19
	v_accvgpr_write_b32 a104, v18
	v_mul_f64 v[18:19], v[212:213], s[26:27]
	v_accvgpr_write_b32 a115, v19
	v_accvgpr_write_b32 a114, v18
	v_mul_f64 v[18:19], v[214:215], s[18:19]
	v_accvgpr_write_b32 a93, v19
	v_accvgpr_write_b32 a92, v18
	v_mul_f64 v[18:19], v[238:239], s[18:19]
	v_accvgpr_write_b32 a101, v19
	v_accvgpr_write_b32 a100, v18
	v_mul_f64 v[18:19], v[214:215], s[30:31]
	v_accvgpr_write_b32 a111, v19
	v_accvgpr_write_b32 a110, v18
	v_mul_f64 v[18:19], v[238:239], s[30:31]
	v_accvgpr_write_b32 a121, v19
	v_accvgpr_write_b32 a120, v18
	v_mul_f64 v[18:19], v[224:225], s[26:27]
	v_accvgpr_write_b32 a97, v19
	v_accvgpr_write_b32 a96, v18
	v_mul_f64 v[18:19], v[252:253], s[26:27]
	v_accvgpr_write_b32 a107, v19
	v_accvgpr_write_b32 a106, v18
	v_mul_f64 v[18:19], v[224:225], s[18:19]
	v_accvgpr_write_b32 a117, v19
	v_accvgpr_write_b32 a116, v18
	v_mul_f64 v[18:19], v[240:241], s[30:31]
	v_accvgpr_write_b32 a52, v88
	v_accvgpr_write_b32 a82, v112
	v_accvgpr_write_b32 a103, v19
	v_accvgpr_write_b32 a53, v89
	;; [unrolled: 1-line block ×4, first 2 shown]
	v_mul_f64 v[90:91], v[206:207], s[30:31]
	v_accvgpr_write_b32 a83, v113
	v_accvgpr_write_b32 a84, v114
	;; [unrolled: 1-line block ×4, first 2 shown]
	v_mul_f64 v[18:19], v[12:13], s[30:31]
	v_mul_f64 v[86:87], v[212:213], s[0:1]
	v_fma_f64 v[114:115], s[34:35], v[192:193], v[90:91]
	v_accvgpr_write_b32 a113, v19
	v_mul_f64 v[26:27], v[238:239], s[26:27]
	s_mov_b32 s45, 0x3fe82f19
	s_mov_b32 s44, s28
	v_fma_f64 v[88:89], s[6:7], v[202:203], v[86:87]
	v_add_f64 v[114:115], v[118:119], v[114:115]
	v_accvgpr_write_b32 a112, v18
	v_mul_f64 v[18:19], v[240:241], s[0:1]
	v_mul_f64 v[24:25], v[252:253], s[14:15]
	v_fma_f64 v[28:29], s[44:45], v[218:219], v[26:27]
	v_add_f64 v[88:89], v[88:89], v[114:115]
	v_accvgpr_write_b32 a123, v19
	v_mul_f64 v[22:23], v[12:13], s[18:19]
	v_fma_f64 v[20:21], s[20:21], v[234:235], v[24:25]
	v_add_f64 v[28:29], v[28:29], v[88:89]
	v_accvgpr_write_b32 a37, v94
	v_accvgpr_write_b32 a38, v95
	v_mul_f64 v[94:95], v[200:201], s[36:37]
	v_fmac_f64_e32 v[90:91], s[36:37], v[192:193]
	v_mul_f64 v[16:17], v[186:187], s[0:1]
	v_accvgpr_write_b32 a122, v18
	v_fma_f64 v[18:19], s[38:39], v[250:251], v[22:23]
	v_add_f64 v[20:21], v[20:21], v[28:29]
	v_accvgpr_write_b32 a15, v92
	v_accvgpr_write_b32 a36, v93
	v_mul_f64 v[92:93], v[208:209], s[42:43]
	v_fma_f64 v[62:63], s[30:31], v[186:187], v[94:95]
	v_fmac_f64_e32 v[86:87], s[42:43], v[202:203]
	v_add_f64 v[90:91], v[118:119], v[90:91]
	v_accvgpr_write_b32 a87, v17
	v_add_f64 v[20:21], v[18:19], v[20:21]
	v_mul_f64 v[114:115], v[228:229], s[28:29]
	v_fma_f64 v[18:19], s[0:1], v[194:195], v[92:93]
	v_add_f64 v[62:63], v[116:117], v[62:63]
	v_fmac_f64_e32 v[26:27], s[28:29], v[218:219]
	v_add_f64 v[86:87], v[86:87], v[90:91]
	v_accvgpr_write_b32 a86, v16
	v_mul_f64 v[16:17], v[206:207], s[0:1]
	v_mul_f64 v[88:89], v[244:245], s[40:41]
	v_add_f64 v[18:19], v[18:19], v[62:63]
	v_fma_f64 v[62:63], s[26:27], v[214:215], v[114:115]
	v_fmac_f64_e32 v[24:25], s[40:41], v[234:235]
	v_add_f64 v[26:27], v[26:27], v[86:87]
	v_accvgpr_write_b32 a91, v17
	v_add_f64 v[18:19], v[62:63], v[18:19]
	v_fma_f64 v[62:63], s[14:15], v[224:225], v[88:89]
	v_add_f64 v[24:25], v[24:25], v[26:27]
	v_fma_f64 v[26:27], v[224:225], s[14:15], -v[88:89]
	v_fma_f64 v[88:89], v[186:187], s[30:31], -v[94:95]
	v_accvgpr_write_b32 a90, v16
	v_mul_f64 v[16:17], v[186:187], s[14:15]
	v_fma_f64 v[86:87], v[194:195], s[0:1], -v[92:93]
	v_add_f64 v[88:89], v[116:117], v[88:89]
	v_accvgpr_write_b32 a99, v17
	v_mul_f64 v[70:71], v[238:239], s[14:15]
	v_mul_f64 v[28:29], v[4:5], s[22:23]
	v_fmac_f64_e32 v[22:23], s[22:23], v[250:251]
	v_add_f64 v[86:87], v[86:87], v[88:89]
	v_mul_f64 v[88:89], v[238:239], s[0:1]
	v_mov_b32_e32 v238, v98
	v_mov_b32_e32 v239, v99
	v_mul_f64 v[98:99], v[206:207], s[26:27]
	v_accvgpr_write_b32 a98, v16
	v_mul_f64 v[16:17], v[206:207], s[14:15]
	v_add_f64 v[18:19], v[62:63], v[18:19]
	v_fma_f64 v[62:63], s[18:19], v[240:241], v[28:29]
	v_add_f64 v[24:25], v[22:23], v[24:25]
	v_fma_f64 v[22:23], v[240:241], s[18:19], -v[28:29]
	v_fma_f64 v[28:29], v[214:215], s[26:27], -v[114:115]
	v_mul_f64 v[92:93], v[212:213], s[18:19]
	v_fma_f64 v[114:115], s[44:45], v[192:193], v[98:99]
	v_accvgpr_write_b32 a109, v17
	v_fma_f64 v[94:95], s[22:23], v[202:203], v[92:93]
	v_add_f64 v[114:115], v[118:119], v[114:115]
	v_mul_f64 v[200:201], v[200:201], s[28:29]
	v_accvgpr_write_b32 a108, v16
	v_mul_f64 v[16:17], v[186:187], s[18:19]
	v_add_f64 v[28:29], v[28:29], v[86:87]
	v_mul_f64 v[86:87], v[252:253], s[30:31]
	v_fma_f64 v[90:91], s[42:43], v[218:219], v[88:89]
	v_add_f64 v[94:95], v[94:95], v[114:115]
	v_mul_f64 v[114:115], v[228:229], s[6:7]
	v_mul_f64 v[208:209], v[208:209], s[38:39]
	v_fma_f64 v[228:229], s[26:27], v[186:187], v[200:201]
	v_accvgpr_write_b32 a119, v17
	v_mul_f64 v[60:61], v[212:213], s[30:31]
	v_add_f64 v[26:27], v[26:27], v[28:29]
	v_fma_f64 v[28:29], s[34:35], v[234:235], v[86:87]
	v_add_f64 v[90:91], v[90:91], v[94:95]
	v_fma_f64 v[212:213], s[18:19], v[194:195], v[208:209]
	v_add_f64 v[228:229], v[116:117], v[228:229]
	v_accvgpr_write_b32 a118, v16
	v_mul_f64 v[16:17], v[206:207], s[18:19]
	v_accvgpr_write_b32 a64, v84
	v_accvgpr_write_b32 a65, v85
	v_mul_f64 v[84:85], v[12:13], s[0:1]
	v_accvgpr_write_b32 a39, v96
	v_accvgpr_write_b32 a40, v97
	v_mul_f64 v[96:97], v[12:13], s[26:27]
	v_mul_f64 v[12:13], v[12:13], s[14:15]
	v_add_f64 v[28:29], v[28:29], v[90:91]
	v_mul_f64 v[90:91], v[244:245], s[36:37]
	v_fma_f64 v[206:207], s[0:1], v[214:215], v[114:115]
	v_add_f64 v[212:213], v[212:213], v[228:229]
	v_add_f64 v[22:23], v[22:23], v[26:27]
	v_fma_f64 v[26:27], s[20:21], v[250:251], v[12:13]
	v_mul_f64 v[4:5], v[4:5], s[40:41]
	v_fma_f64 v[94:95], s[30:31], v[224:225], v[90:91]
	v_add_f64 v[206:207], v[206:207], v[212:213]
	v_add_f64 v[28:29], v[26:27], v[28:29]
	v_fma_f64 v[26:27], s[14:15], v[240:241], v[4:5]
	v_add_f64 v[94:95], v[94:95], v[206:207]
	v_fmac_f64_e32 v[98:99], s[28:29], v[192:193]
	v_add_f64 v[26:27], v[26:27], v[94:95]
	v_fmac_f64_e32 v[92:93], s[38:39], v[202:203]
	;; [unrolled: 2-line block ×5, first 2 shown]
	v_add_f64 v[86:87], v[86:87], v[88:89]
	v_add_f64 v[202:203], v[12:13], v[86:87]
	v_fma_f64 v[12:13], v[224:225], s[30:31], -v[90:91]
	v_fma_f64 v[90:91], v[186:187], s[26:27], -v[200:201]
	v_fma_f64 v[88:89], v[194:195], s[18:19], -v[208:209]
	v_add_f64 v[90:91], v[116:117], v[90:91]
	v_fma_f64 v[86:87], v[214:215], s[0:1], -v[114:115]
	v_add_f64 v[88:89], v[88:89], v[90:91]
	v_add_f64 v[86:87], v[86:87], v[88:89]
	v_fma_f64 v[4:5], v[240:241], s[14:15], -v[4:5]
	v_add_f64 v[12:13], v[12:13], v[86:87]
	v_add_f64 v[200:201], v[4:5], v[12:13]
	;; [unrolled: 1-line block ×5, first 2 shown]
	v_mul_f64 v[112:113], v[252:253], s[0:1]
	v_add_f64 v[8:9], v[8:9], v[70:71]
	v_add_f64 v[0:1], v[0:1], v[12:13]
	;; [unrolled: 1-line block ×5, first 2 shown]
	v_accvgpr_read_b32 v10, a118
	v_accvgpr_read_b32 v11, a119
	v_mul_f64 v[30:31], v[194:195], s[30:31]
	v_add_f64 v[10:11], v[10:11], -v[246:247]
	v_mul_f64 v[68:69], v[214:215], s[14:15]
	v_add_f64 v[18:19], v[62:63], v[18:19]
	v_mul_f64 v[62:63], v[240:241], s[26:27]
	v_add_f64 v[4:5], v[14:15], v[96:97]
	v_add_f64 v[8:9], v[30:31], -v[248:249]
	v_add_f64 v[10:11], v[116:117], v[10:11]
	v_accvgpr_read_b32 v12, a108
	v_add_f64 v[4:5], v[4:5], v[0:1]
	v_add_f64 v[0:1], v[62:63], -v[6:7]
	v_add_f64 v[6:7], v[68:69], -v[254:255]
	v_add_f64 v[8:9], v[8:9], v[10:11]
	v_accvgpr_read_b32 v10, a114
	v_accvgpr_read_b32 v13, a109
	v_add_f64 v[6:7], v[6:7], v[8:9]
	v_accvgpr_read_b32 v8, a120
	v_accvgpr_read_b32 v11, a115
	v_add_f64 v[12:13], v[184:185], v[12:13]
	v_mul_f64 v[82:83], v[224:225], s[0:1]
	v_accvgpr_read_b32 v9, a121
	v_add_f64 v[10:11], v[222:223], v[10:11]
	v_add_f64 v[12:13], v[118:119], v[12:13]
	v_mul_f64 v[80:81], v[252:253], s[18:19]
	v_add_f64 v[2:3], v[82:83], -v[2:3]
	v_add_f64 v[8:9], v[230:231], v[8:9]
	v_add_f64 v[10:11], v[10:11], v[12:13]
	v_accvgpr_read_b32 v14, a98
	v_add_f64 v[2:3], v[2:3], v[6:7]
	v_add_f64 v[6:7], v[236:237], v[80:81]
	;; [unrolled: 1-line block ×3, first 2 shown]
	v_accvgpr_read_b32 v12, a104
	v_accvgpr_read_b32 v15, a99
	v_add_f64 v[2:3], v[0:1], v[2:3]
	v_add_f64 v[0:1], v[242:243], v[84:85]
	;; [unrolled: 1-line block ×3, first 2 shown]
	v_accvgpr_read_b32 v10, a110
	v_accvgpr_read_b32 v13, a105
	v_add_f64 v[14:15], v[14:15], -v[182:183]
	v_add_f64 v[8:9], v[0:1], v[6:7]
	v_accvgpr_read_b32 v6, a116
	v_accvgpr_read_b32 v11, a111
	v_add_f64 v[12:13], v[12:13], -v[188:189]
	v_add_f64 v[14:15], v[116:117], v[14:15]
	v_accvgpr_read_b32 v16, a90
	v_accvgpr_read_b32 v0, a122
	v_accvgpr_read_b32 v7, a117
	v_add_f64 v[10:11], v[10:11], -v[220:221]
	v_add_f64 v[12:13], v[12:13], v[14:15]
	v_accvgpr_read_b32 v14, a94
	;; [unrolled: 5-line block ×3, first 2 shown]
	v_accvgpr_read_b32 v15, a95
	v_add_f64 v[16:17], v[152:153], v[16:17]
	v_add_f64 v[0:1], v[0:1], -v[232:233]
	v_add_f64 v[6:7], v[6:7], v[10:11]
	v_accvgpr_read_b32 v10, a106
	v_accvgpr_read_b32 v13, a101
	v_add_f64 v[14:15], v[154:155], v[14:15]
	v_add_f64 v[16:17], v[118:119], v[16:17]
	;; [unrolled: 1-line block ×3, first 2 shown]
	v_accvgpr_read_b32 v0, a112
	v_accvgpr_read_b32 v11, a107
	v_add_f64 v[12:13], v[196:197], v[12:13]
	v_add_f64 v[14:15], v[14:15], v[16:17]
	v_accvgpr_read_b32 v30, a86
	v_accvgpr_read_b32 v1, a113
	v_add_f64 v[10:11], v[204:205], v[10:11]
	v_add_f64 v[12:13], v[12:13], v[14:15]
	v_accvgpr_read_b32 v16, a88
	v_accvgpr_read_b32 v31, a87
	v_add_f64 v[0:1], v[216:217], v[0:1]
	v_add_f64 v[10:11], v[10:11], v[12:13]
	v_accvgpr_read_b32 v14, a92
	v_accvgpr_read_b32 v17, a89
	v_add_f64 v[30:31], v[30:31], -v[148:149]
	v_add_f64 v[12:13], v[0:1], v[10:11]
	v_accvgpr_read_b32 v10, a96
	v_accvgpr_read_b32 v15, a93
	v_add_f64 v[16:17], v[16:17], -v[150:151]
	v_add_f64 v[30:31], v[116:117], v[30:31]
	;; [unrolled: 4-line block ×3, first 2 shown]
	v_accvgpr_read_b32 v1, a103
	v_add_f64 v[10:11], v[10:11], -v[198:199]
	v_add_f64 v[14:15], v[14:15], v[16:17]
	v_add_f64 v[0:1], v[0:1], -v[210:211]
	v_add_f64 v[10:11], v[10:11], v[14:15]
	v_add_f64 v[10:11], v[0:1], v[10:11]
	;; [unrolled: 1-line block ×20, first 2 shown]
	v_accvgpr_read_b32 v91, a55
	v_accvgpr_read_b32 v115, a85
	v_add_f64 v[0:1], v[0:1], v[134:135]
	v_mov_b32_e32 v99, v239
	v_mov_b32_e32 v98, v238
	v_accvgpr_read_b32 v95, a38
	v_accvgpr_read_b32 v94, a37
	;; [unrolled: 1-line block ×14, first 2 shown]
	v_add_f64 v[116:117], v[0:1], v[146:147]
	v_lshl_add_u32 v0, v158, 4, v160
	ds_write_b128 v161, v[116:119]
	ds_write_b128 v0, v[10:13] offset:1152
	ds_write_b128 v0, v[6:9] offset:2304
	;; [unrolled: 1-line block ×10, first 2 shown]
.LBB0_19:
	s_or_b64 exec, exec, s[24:25]
	v_lshlrev_b32_e32 v0, 4, v158
	v_mov_b32_e32 v1, 0
	v_lshl_add_u64 v[16:17], s[16:17], 0, v[0:1]
	s_mov_b64 s[0:1], 0x3180
	v_lshl_add_u64 v[128:129], v[16:17], 0, s[0:1]
	s_movk_i32 s0, 0x3000
	v_add_co_u32_e32 v0, vcc, s0, v16
	s_movk_i32 s0, 0x4000
	s_nop 0
	v_addc_co_u32_e32 v1, vcc, 0, v17, vcc
	v_add_co_u32_e32 v22, vcc, s0, v16
	s_movk_i32 s0, 0x5000
	s_nop 0
	v_addc_co_u32_e32 v23, vcc, 0, v17, vcc
	v_add_co_u32_e32 v16, vcc, s0, v16
	s_waitcnt lgkmcnt(0)
	s_barrier
	global_load_dwordx4 v[116:119], v[0:1], off offset:384
	v_addc_co_u32_e32 v17, vcc, 0, v17, vcc
	global_load_dwordx4 v[0:3], v[22:23], off offset:2624
	global_load_dwordx4 v[4:7], v[22:23], off offset:4032
	;; [unrolled: 1-line block ×5, first 2 shown]
	s_nop 0
	global_load_dwordx4 v[22:25], v[22:23], off offset:512
	s_nop 0
	global_load_dwordx4 v[26:29], v[16:17], off offset:2752
	ds_read_b128 v[130:133], v161
	ds_read_b128 v[134:137], v161 offset:1408
	ds_read_b128 v[138:141], v161 offset:6336
	;; [unrolled: 1-line block ×7, first 2 shown]
	s_waitcnt vmcnt(6) lgkmcnt(5)
	v_mul_f64 v[30:31], v[140:141], v[2:3]
	v_mul_f64 v[16:17], v[132:133], v[118:119]
	;; [unrolled: 1-line block ×4, first 2 shown]
	s_waitcnt vmcnt(4)
	v_mul_f64 v[60:61], v[136:137], v[10:11]
	v_mul_f64 v[2:3], v[134:135], v[10:11]
	s_waitcnt lgkmcnt(4)
	v_mul_f64 v[62:63], v[144:145], v[6:7]
	v_mul_f64 v[10:11], v[142:143], v[6:7]
	s_waitcnt vmcnt(3) lgkmcnt(3)
	v_mul_f64 v[68:69], v[148:149], v[14:15]
	v_mul_f64 v[6:7], v[146:147], v[14:15]
	s_waitcnt vmcnt(2) lgkmcnt(1)
	v_mul_f64 v[70:71], v[156:157], v[20:21]
	v_mul_f64 v[14:15], v[154:155], v[20:21]
	s_waitcnt vmcnt(1)
	v_mul_f64 v[80:81], v[152:153], v[24:25]
	v_mul_f64 v[20:21], v[150:151], v[24:25]
	s_waitcnt vmcnt(0) lgkmcnt(0)
	v_mul_f64 v[82:83], v[164:165], v[28:29]
	v_mul_f64 v[24:25], v[162:163], v[28:29]
	v_fma_f64 v[166:167], v[130:131], v[116:117], -v[16:17]
	v_fmac_f64_e32 v[168:169], v[132:133], v[116:117]
	v_fma_f64 v[116:117], v[138:139], v[0:1], -v[30:31]
	v_fmac_f64_e32 v[118:119], v[140:141], v[0:1]
	;; [unrolled: 2-line block ×8, first 2 shown]
	ds_write_b128 v161, v[166:169]
	ds_write_b128 v161, v[116:119] offset:6336
	ds_write_b128 v161, v[0:3] offset:1408
	;; [unrolled: 1-line block ×7, first 2 shown]
	s_and_saveexec_b64 s[0:1], s[4:5]
	s_cbranch_execz .LBB0_21
; %bb.20:
	v_add_co_u32_e32 v0, vcc, 0x1000, v128
	s_movk_i32 s6, 0x2000
	s_nop 0
	v_addc_co_u32_e32 v1, vcc, 0, v129, vcc
	v_add_co_u32_e32 v4, vcc, s6, v128
	global_load_dwordx4 v[0:3], v[0:1], off offset:1536
	s_nop 0
	v_addc_co_u32_e32 v5, vcc, 0, v129, vcc
	global_load_dwordx4 v[4:7], v[4:5], off offset:3776
	ds_read_b128 v[8:11], v161 offset:5632
	ds_read_b128 v[12:15], v161 offset:11968
	s_waitcnt vmcnt(1) lgkmcnt(1)
	v_mul_f64 v[16:17], v[10:11], v[2:3]
	v_mul_f64 v[20:21], v[8:9], v[2:3]
	v_fma_f64 v[18:19], v[8:9], v[0:1], -v[16:17]
	s_waitcnt vmcnt(0) lgkmcnt(0)
	v_mul_f64 v[22:23], v[14:15], v[6:7]
	v_mul_f64 v[2:3], v[12:13], v[6:7]
	v_fmac_f64_e32 v[20:21], v[10:11], v[0:1]
	v_fma_f64 v[0:1], v[12:13], v[4:5], -v[22:23]
	v_fmac_f64_e32 v[2:3], v[14:15], v[4:5]
	ds_write_b128 v161, v[18:21] offset:5632
	ds_write_b128 v161, v[0:3] offset:11968
.LBB0_21:
	s_or_b64 exec, exec, s[0:1]
	s_waitcnt lgkmcnt(0)
	s_barrier
	ds_read_b128 v[148:151], v161
	ds_read_b128 v[136:139], v161 offset:1408
	ds_read_b128 v[152:155], v161 offset:6336
	;; [unrolled: 1-line block ×7, first 2 shown]
	s_and_saveexec_b64 s[0:1], s[4:5]
	s_cbranch_execz .LBB0_23
; %bb.22:
	v_lshl_add_u32 v0, v158, 4, v160
	ds_read_b128 v[124:127], v0 offset:5632
	ds_read_b128 v[120:123], v0 offset:11968
.LBB0_23:
	s_or_b64 exec, exec, s[0:1]
	s_waitcnt lgkmcnt(5)
	v_add_f64 v[0:1], v[148:149], -v[152:153]
	v_add_f64 v[2:3], v[150:151], -v[154:155]
	s_waitcnt lgkmcnt(0)
	v_add_f64 v[26:27], v[116:117], -v[128:129]
	v_add_f64 v[28:29], v[118:119], -v[130:131]
	;; [unrolled: 1-line block ×4, first 2 shown]
	v_fma_f64 v[4:5], v[148:149], 2.0, -v[0:1]
	v_fma_f64 v[6:7], v[150:151], 2.0, -v[2:3]
	v_add_f64 v[8:9], v[136:137], -v[144:145]
	v_add_f64 v[10:11], v[138:139], -v[146:147]
	;; [unrolled: 1-line block ×4, first 2 shown]
	v_fma_f64 v[128:129], v[116:117], 2.0, -v[26:27]
	v_fma_f64 v[130:131], v[118:119], 2.0, -v[28:29]
	;; [unrolled: 1-line block ×8, first 2 shown]
	s_barrier
	ds_write_b128 v96, v[4:7]
	ds_write_b128 v96, v[0:3] offset:16
	ds_write_b128 v97, v[12:15]
	ds_write_b128 v97, v[8:11] offset:16
	;; [unrolled: 2-line block ×4, first 2 shown]
	s_and_saveexec_b64 s[0:1], s[4:5]
	s_cbranch_execz .LBB0_25
; %bb.24:
	ds_write_b128 v95, v[116:119]
	ds_write_b128 v95, v[120:123] offset:16
.LBB0_25:
	s_or_b64 exec, exec, s[0:1]
	s_waitcnt lgkmcnt(0)
	s_barrier
	ds_read_b128 v[136:139], v161
	ds_read_b128 v[132:135], v161 offset:1408
	ds_read_b128 v[152:155], v161 offset:6336
	;; [unrolled: 1-line block ×7, first 2 shown]
	s_and_saveexec_b64 s[0:1], s[4:5]
	s_cbranch_execz .LBB0_27
; %bb.26:
	ds_read_b128 v[116:119], v161 offset:5632
	ds_read_b128 v[120:123], v161 offset:11968
.LBB0_27:
	s_or_b64 exec, exec, s[0:1]
	s_waitcnt lgkmcnt(4)
	v_mul_f64 v[4:5], v[34:35], v[148:149]
	v_mul_f64 v[0:1], v[34:35], v[154:155]
	;; [unrolled: 1-line block ×3, first 2 shown]
	v_fma_f64 v[10:11], v[32:33], v[150:151], -v[4:5]
	s_waitcnt lgkmcnt(1)
	v_mul_f64 v[4:5], v[34:35], v[144:145]
	v_fmac_f64_e32 v[0:1], v[32:33], v[152:153]
	v_fma_f64 v[2:3], v[32:33], v[154:155], -v[2:3]
	v_mul_f64 v[8:9], v[34:35], v[150:151]
	v_mul_f64 v[16:17], v[34:35], v[146:147]
	v_fma_f64 v[20:21], v[32:33], v[146:147], -v[4:5]
	s_waitcnt lgkmcnt(0)
	v_mul_f64 v[4:5], v[34:35], v[140:141]
	v_fmac_f64_e32 v[8:9], v[32:33], v[148:149]
	v_fmac_f64_e32 v[16:17], v[32:33], v[144:145]
	v_mul_f64 v[26:27], v[34:35], v[142:143]
	v_fma_f64 v[28:29], v[32:33], v[142:143], -v[4:5]
	v_mul_f64 v[30:31], v[34:35], v[122:123]
	v_mul_f64 v[4:5], v[34:35], v[120:121]
	v_add_f64 v[0:1], v[136:137], -v[0:1]
	v_add_f64 v[2:3], v[138:139], -v[2:3]
	v_fmac_f64_e32 v[26:27], v[32:33], v[140:141]
	v_fmac_f64_e32 v[30:31], v[32:33], v[120:121]
	v_fma_f64 v[32:33], v[32:33], v[122:123], -v[4:5]
	v_fma_f64 v[4:5], v[136:137], 2.0, -v[0:1]
	v_fma_f64 v[6:7], v[138:139], 2.0, -v[2:3]
	v_add_f64 v[8:9], v[132:133], -v[8:9]
	v_add_f64 v[10:11], v[134:135], -v[10:11]
	;; [unrolled: 1-line block ×3, first 2 shown]
	v_accvgpr_read_b32 v16, a44
	v_fma_f64 v[12:13], v[132:133], 2.0, -v[8:9]
	v_fma_f64 v[14:15], v[134:135], 2.0, -v[10:11]
	v_add_f64 v[20:21], v[130:131], -v[20:21]
	s_barrier
	ds_write_b128 v16, v[4:7]
	ds_write_b128 v16, v[0:3] offset:32
	v_accvgpr_read_b32 v0, a43
	v_fma_f64 v[22:23], v[128:129], 2.0, -v[18:19]
	v_fma_f64 v[24:25], v[130:131], 2.0, -v[20:21]
	v_add_f64 v[26:27], v[124:125], -v[26:27]
	v_add_f64 v[28:29], v[126:127], -v[28:29]
	;; [unrolled: 1-line block ×4, first 2 shown]
	ds_write_b128 v0, v[12:15]
	ds_write_b128 v0, v[8:11] offset:32
	v_accvgpr_read_b32 v0, a42
	v_fma_f64 v[124:125], v[124:125], 2.0, -v[26:27]
	v_fma_f64 v[126:127], v[126:127], 2.0, -v[28:29]
	;; [unrolled: 1-line block ×4, first 2 shown]
	ds_write_b128 v0, v[22:25]
	ds_write_b128 v0, v[18:21] offset:32
	v_accvgpr_read_b32 v0, a41
	ds_write_b128 v0, v[124:127]
	ds_write_b128 v0, v[26:29] offset:32
	s_and_saveexec_b64 s[0:1], s[4:5]
	s_cbranch_execz .LBB0_29
; %bb.28:
	s_movk_i32 s6, 0x3fc
	v_and_or_b32 v0, v92, s6, v93
	v_lshl_add_u32 v0, v0, 4, v160
	ds_write_b128 v0, v[32:35]
	ds_write_b128 v0, v[120:123] offset:32
.LBB0_29:
	s_or_b64 exec, exec, s[0:1]
	s_waitcnt lgkmcnt(0)
	s_barrier
	ds_read_b128 v[132:135], v161
	ds_read_b128 v[128:131], v161 offset:1408
	ds_read_b128 v[148:151], v161 offset:6336
	;; [unrolled: 1-line block ×7, first 2 shown]
	s_and_saveexec_b64 s[0:1], s[4:5]
	s_cbranch_execz .LBB0_31
; %bb.30:
	ds_read_b128 v[32:35], v161 offset:5632
	ds_read_b128 v[120:123], v161 offset:11968
.LBB0_31:
	s_or_b64 exec, exec, s[0:1]
	s_waitcnt lgkmcnt(4)
	v_mul_f64 v[4:5], v[38:39], v[144:145]
	v_mul_f64 v[0:1], v[38:39], v[150:151]
	;; [unrolled: 1-line block ×3, first 2 shown]
	v_fma_f64 v[10:11], v[36:37], v[146:147], -v[4:5]
	s_waitcnt lgkmcnt(1)
	v_mul_f64 v[4:5], v[38:39], v[140:141]
	v_fmac_f64_e32 v[0:1], v[36:37], v[148:149]
	v_fma_f64 v[2:3], v[36:37], v[150:151], -v[2:3]
	v_mul_f64 v[8:9], v[38:39], v[146:147]
	v_mul_f64 v[16:17], v[38:39], v[142:143]
	v_fma_f64 v[20:21], v[36:37], v[142:143], -v[4:5]
	s_waitcnt lgkmcnt(0)
	v_mul_f64 v[4:5], v[38:39], v[136:137]
	v_fmac_f64_e32 v[8:9], v[36:37], v[144:145]
	v_fmac_f64_e32 v[16:17], v[36:37], v[140:141]
	v_fma_f64 v[28:29], v[36:37], v[138:139], -v[4:5]
	v_mul_f64 v[4:5], v[38:39], v[120:121]
	v_add_f64 v[0:1], v[132:133], -v[0:1]
	v_add_f64 v[2:3], v[134:135], -v[2:3]
	v_mul_f64 v[26:27], v[38:39], v[138:139]
	v_mul_f64 v[30:31], v[38:39], v[122:123]
	v_fma_f64 v[38:39], v[36:37], v[122:123], -v[4:5]
	v_fma_f64 v[4:5], v[132:133], 2.0, -v[0:1]
	v_fma_f64 v[6:7], v[134:135], 2.0, -v[2:3]
	v_add_f64 v[8:9], v[128:129], -v[8:9]
	v_add_f64 v[10:11], v[130:131], -v[10:11]
	;; [unrolled: 1-line block ×3, first 2 shown]
	v_accvgpr_read_b32 v16, a48
	v_fmac_f64_e32 v[26:27], v[36:37], v[136:137]
	v_fma_f64 v[12:13], v[128:129], 2.0, -v[8:9]
	v_fma_f64 v[14:15], v[130:131], 2.0, -v[10:11]
	v_add_f64 v[20:21], v[126:127], -v[20:21]
	s_barrier
	ds_write_b128 v16, v[4:7]
	ds_write_b128 v16, v[0:3] offset:64
	v_accvgpr_read_b32 v0, a47
	v_fmac_f64_e32 v[30:31], v[36:37], v[120:121]
	v_fma_f64 v[22:23], v[124:125], 2.0, -v[18:19]
	v_fma_f64 v[24:25], v[126:127], 2.0, -v[20:21]
	v_add_f64 v[26:27], v[116:117], -v[26:27]
	v_add_f64 v[28:29], v[118:119], -v[28:29]
	ds_write_b128 v0, v[12:15]
	ds_write_b128 v0, v[8:11] offset:64
	v_accvgpr_read_b32 v0, a46
	v_fma_f64 v[116:117], v[116:117], 2.0, -v[26:27]
	v_fma_f64 v[118:119], v[118:119], 2.0, -v[28:29]
	v_add_f64 v[36:37], v[32:33], -v[30:31]
	v_add_f64 v[38:39], v[34:35], -v[38:39]
	ds_write_b128 v0, v[22:25]
	ds_write_b128 v0, v[18:21] offset:64
	v_accvgpr_read_b32 v0, a45
	ds_write_b128 v0, v[116:119]
	ds_write_b128 v0, v[26:29] offset:64
	s_and_saveexec_b64 s[0:1], s[4:5]
	s_cbranch_execz .LBB0_33
; %bb.32:
	s_movk_i32 s6, 0x3f8
	v_and_or_b32 v4, v92, s6, v94
	v_fma_f64 v[2:3], v[34:35], 2.0, -v[38:39]
	v_fma_f64 v[0:1], v[32:33], 2.0, -v[36:37]
	v_lshl_add_u32 v4, v4, 4, v160
	ds_write_b128 v4, v[0:3]
	ds_write_b128 v4, v[36:39] offset:64
.LBB0_33:
	s_or_b64 exec, exec, s[0:1]
	s_waitcnt lgkmcnt(0)
	s_barrier
	ds_read_b128 v[0:3], v161
	ds_read_b128 v[4:7], v161 offset:1408
	ds_read_b128 v[8:11], v161 offset:8448
	ds_read_b128 v[12:15], v161 offset:9856
	ds_read_b128 v[18:21], v161 offset:4224
	ds_read_b128 v[22:25], v161 offset:2816
	ds_read_b128 v[26:29], v161 offset:5632
	ds_read_b128 v[32:35], v161 offset:7040
	ds_read_b128 v[116:119], v161 offset:11264
	s_waitcnt lgkmcnt(4)
	v_mul_f64 v[16:17], v[46:47], v[20:21]
	v_fmac_f64_e32 v[16:17], v[44:45], v[18:19]
	v_mul_f64 v[18:19], v[46:47], v[18:19]
	v_fma_f64 v[18:19], v[44:45], v[20:21], -v[18:19]
	v_mul_f64 v[20:21], v[42:43], v[10:11]
	v_fmac_f64_e32 v[20:21], v[40:41], v[8:9]
	v_mul_f64 v[8:9], v[42:43], v[8:9]
	v_fma_f64 v[30:31], v[40:41], v[10:11], -v[8:9]
	s_waitcnt lgkmcnt(2)
	v_mul_f64 v[8:9], v[46:47], v[26:27]
	v_mul_f64 v[60:61], v[46:47], v[28:29]
	v_fma_f64 v[28:29], v[44:45], v[28:29], -v[8:9]
	v_mul_f64 v[8:9], v[42:43], v[12:13]
	v_fma_f64 v[68:69], v[40:41], v[14:15], -v[8:9]
	s_waitcnt lgkmcnt(1)
	v_mul_f64 v[70:71], v[46:47], v[34:35]
	v_mul_f64 v[8:9], v[46:47], v[32:33]
	v_fmac_f64_e32 v[60:61], v[44:45], v[26:27]
	v_fmac_f64_e32 v[70:71], v[44:45], v[32:33]
	v_fma_f64 v[44:45], v[44:45], v[34:35], -v[8:9]
	s_waitcnt lgkmcnt(0)
	v_mul_f64 v[8:9], v[42:43], v[116:117]
	v_add_f64 v[10:11], v[16:17], v[20:21]
	s_mov_b32 s0, 0xe8584caa
	v_mul_f64 v[62:63], v[42:43], v[14:15]
	v_mul_f64 v[46:47], v[42:43], v[118:119]
	v_fma_f64 v[42:43], v[40:41], v[118:119], -v[8:9]
	v_add_f64 v[8:9], v[0:1], v[16:17]
	v_fmac_f64_e32 v[0:1], -0.5, v[10:11]
	v_add_f64 v[10:11], v[18:19], -v[30:31]
	s_mov_b32 s1, 0xbfebb67a
	s_mov_b32 s7, 0x3febb67a
	;; [unrolled: 1-line block ×3, first 2 shown]
	v_add_f64 v[14:15], v[18:19], v[30:31]
	v_fmac_f64_e32 v[62:63], v[40:41], v[12:13]
	v_fma_f64 v[12:13], s[0:1], v[10:11], v[0:1]
	v_fmac_f64_e32 v[0:1], s[6:7], v[10:11]
	v_add_f64 v[10:11], v[2:3], v[18:19]
	v_fmac_f64_e32 v[2:3], -0.5, v[14:15]
	v_add_f64 v[16:17], v[16:17], -v[20:21]
	v_fma_f64 v[14:15], s[6:7], v[16:17], v[2:3]
	v_fmac_f64_e32 v[2:3], s[0:1], v[16:17]
	v_add_f64 v[16:17], v[4:5], v[60:61]
	v_add_f64 v[18:19], v[16:17], v[62:63]
	;; [unrolled: 1-line block ×3, first 2 shown]
	v_fmac_f64_e32 v[4:5], -0.5, v[16:17]
	v_add_f64 v[16:17], v[28:29], -v[68:69]
	v_fma_f64 v[26:27], s[0:1], v[16:17], v[4:5]
	v_fmac_f64_e32 v[4:5], s[6:7], v[16:17]
	v_add_f64 v[16:17], v[6:7], v[28:29]
	v_add_f64 v[8:9], v[8:9], v[20:21]
	;; [unrolled: 1-line block ×4, first 2 shown]
	v_fmac_f64_e32 v[6:7], -0.5, v[16:17]
	v_add_f64 v[16:17], v[60:61], -v[62:63]
	v_fmac_f64_e32 v[46:47], v[40:41], v[116:117]
	v_fma_f64 v[28:29], s[6:7], v[16:17], v[6:7]
	v_fmac_f64_e32 v[6:7], s[0:1], v[16:17]
	v_add_f64 v[16:17], v[22:23], v[70:71]
	v_add_f64 v[32:33], v[16:17], v[46:47]
	;; [unrolled: 1-line block ×3, first 2 shown]
	v_fmac_f64_e32 v[22:23], -0.5, v[16:17]
	v_add_f64 v[16:17], v[44:45], -v[42:43]
	v_fma_f64 v[40:41], s[0:1], v[16:17], v[22:23]
	v_fmac_f64_e32 v[22:23], s[6:7], v[16:17]
	v_add_f64 v[16:17], v[24:25], v[44:45]
	v_add_f64 v[34:35], v[16:17], v[42:43]
	;; [unrolled: 1-line block ×3, first 2 shown]
	v_fmac_f64_e32 v[24:25], -0.5, v[16:17]
	v_add_f64 v[16:17], v[70:71], -v[46:47]
	v_add_f64 v[10:11], v[10:11], v[30:31]
	v_fma_f64 v[42:43], s[6:7], v[16:17], v[24:25]
	v_fmac_f64_e32 v[24:25], s[0:1], v[16:17]
	v_accvgpr_read_b32 v16, a49
	s_barrier
	ds_write_b128 v16, v[8:11]
	ds_write_b128 v16, v[12:15] offset:128
	ds_write_b128 v16, v[0:3] offset:256
	v_accvgpr_read_b32 v0, a50
	ds_write_b128 v0, v[18:21]
	ds_write_b128 v0, v[26:29] offset:128
	ds_write_b128 v0, v[4:7] offset:256
	v_accvgpr_read_b32 v0, a51
	ds_write_b128 v0, v[32:35]
	ds_write_b128 v0, v[40:43] offset:128
	ds_write_b128 v0, v[22:25] offset:256
	s_waitcnt lgkmcnt(0)
	s_barrier
	ds_read_b128 v[40:43], v161
	ds_read_b128 v[116:119], v161 offset:1408
	ds_read_b128 v[0:3], v161 offset:8448
	;; [unrolled: 1-line block ×8, first 2 shown]
	s_waitcnt lgkmcnt(4)
	v_mul_f64 v[16:17], v[54:55], v[10:11]
	v_fmac_f64_e32 v[16:17], v[52:53], v[8:9]
	v_mul_f64 v[8:9], v[54:55], v[8:9]
	v_fma_f64 v[8:9], v[52:53], v[10:11], -v[8:9]
	v_mul_f64 v[10:11], v[50:51], v[2:3]
	v_fmac_f64_e32 v[10:11], v[48:49], v[0:1]
	v_mul_f64 v[0:1], v[50:51], v[0:1]
	v_fma_f64 v[0:1], v[48:49], v[2:3], -v[0:1]
	s_waitcnt lgkmcnt(2)
	v_mul_f64 v[2:3], v[66:67], v[14:15]
	v_fmac_f64_e32 v[2:3], v[64:65], v[12:13]
	v_mul_f64 v[12:13], v[66:67], v[12:13]
	v_fma_f64 v[12:13], v[64:65], v[14:15], -v[12:13]
	v_mul_f64 v[14:15], v[58:59], v[6:7]
	v_fmac_f64_e32 v[14:15], v[56:57], v[4:5]
	v_mul_f64 v[4:5], v[58:59], v[4:5]
	v_fma_f64 v[4:5], v[56:57], v[6:7], -v[4:5]
	s_waitcnt lgkmcnt(1)
	v_mul_f64 v[6:7], v[78:79], v[20:21]
	v_fmac_f64_e32 v[6:7], v[76:77], v[18:19]
	v_mul_f64 v[18:19], v[78:79], v[18:19]
	v_fma_f64 v[18:19], v[76:77], v[20:21], -v[18:19]
	s_waitcnt lgkmcnt(0)
	v_mul_f64 v[20:21], v[74:75], v[24:25]
	v_fmac_f64_e32 v[20:21], v[72:73], v[22:23]
	v_mul_f64 v[22:23], v[74:75], v[22:23]
	v_fma_f64 v[22:23], v[72:73], v[24:25], -v[22:23]
	v_add_f64 v[24:25], v[40:41], v[16:17]
	v_add_f64 v[32:33], v[24:25], v[10:11]
	v_add_f64 v[24:25], v[16:17], v[10:11]
	v_fmac_f64_e32 v[40:41], -0.5, v[24:25]
	v_add_f64 v[24:25], v[8:9], -v[0:1]
	v_fma_f64 v[44:45], s[0:1], v[24:25], v[40:41]
	v_fmac_f64_e32 v[40:41], s[6:7], v[24:25]
	v_add_f64 v[24:25], v[42:43], v[8:9]
	v_add_f64 v[34:35], v[24:25], v[0:1]
	v_add_f64 v[0:1], v[8:9], v[0:1]
	v_fmac_f64_e32 v[42:43], -0.5, v[0:1]
	v_add_f64 v[0:1], v[16:17], -v[10:11]
	v_fma_f64 v[46:47], s[6:7], v[0:1], v[42:43]
	v_fmac_f64_e32 v[42:43], s[0:1], v[0:1]
	;; [unrolled: 7-line block ×6, first 2 shown]
	s_barrier
	ds_write_b128 v84, v[32:35]
	ds_write_b128 v84, v[44:47] offset:384
	ds_write_b128 v84, v[40:43] offset:768
	ds_write_b128 v85, v[48:51]
	ds_write_b128 v85, v[52:55] offset:384
	ds_write_b128 v85, v[116:119] offset:768
	;; [unrolled: 3-line block ×3, first 2 shown]
	s_waitcnt lgkmcnt(0)
	s_barrier
	s_and_saveexec_b64 s[0:1], s[2:3]
	s_cbranch_execz .LBB0_35
; %bb.34:
	ds_read_b128 v[32:35], v161
	ds_read_b128 v[44:47], v161 offset:1152
	ds_read_b128 v[40:43], v161 offset:2304
	;; [unrolled: 1-line block ×10, first 2 shown]
.LBB0_35:
	s_or_b64 exec, exec, s[0:1]
	s_and_saveexec_b64 s[0:1], s[2:3]
	s_cbranch_execz .LBB0_37
; %bb.36:
	v_accvgpr_read_b32 v8, a66
	v_accvgpr_read_b32 v12, a60
	s_waitcnt lgkmcnt(4)
	v_mul_f64 v[74:75], v[106:107], v[66:67]
	v_mul_f64 v[2:3], v[110:111], v[116:117]
	v_accvgpr_read_b32 v10, a68
	v_accvgpr_read_b32 v11, a69
	;; [unrolled: 1-line block ×5, first 2 shown]
	v_fmac_f64_e32 v[74:75], v[104:105], v[64:65]
	v_fma_f64 v[76:77], v[108:109], v[118:119], -v[2:3]
	v_mul_f64 v[2:3], v[106:107], v[64:65]
	v_accvgpr_read_b32 v9, a67
	v_mul_f64 v[64:65], v[10:11], v[54:55]
	v_mul_f64 v[6:7], v[10:11], v[52:53]
	v_accvgpr_read_b32 v13, a61
	v_accvgpr_read_b32 v18, a76
	;; [unrolled: 1-line block ×3, first 2 shown]
	v_mul_f64 v[10:11], v[14:15], v[48:49]
	v_fmac_f64_e32 v[64:65], v[8:9], v[52:53]
	v_accvgpr_read_b32 v17, a75
	s_waitcnt lgkmcnt(2)
	v_mul_f64 v[52:53], v[18:19], v[122:123]
	v_fma_f64 v[86:87], v[12:13], v[50:51], -v[10:11]
	v_mul_f64 v[10:11], v[18:19], v[120:121]
	v_fmac_f64_e32 v[52:53], v[16:17], v[120:121]
	v_fma_f64 v[80:81], v[16:17], v[122:123], -v[10:11]
	v_accvgpr_read_b32 v16, a56
	v_fma_f64 v[78:79], v[104:105], v[66:67], -v[2:3]
	v_mul_f64 v[66:67], v[102:103], v[58:59]
	v_accvgpr_read_b32 v18, a58
	v_accvgpr_read_b32 v19, a59
	v_accvgpr_read_b32 v20, a78
	v_fmac_f64_e32 v[66:67], v[100:101], v[56:57]
	v_fma_f64 v[84:85], v[8:9], v[54:55], -v[6:7]
	v_mul_f64 v[6:7], v[102:103], v[56:57]
	v_mul_f64 v[56:57], v[14:15], v[50:51]
	v_accvgpr_read_b32 v17, a57
	v_accvgpr_read_b32 v22, a80
	;; [unrolled: 1-line block ×3, first 2 shown]
	v_mul_f64 v[14:15], v[18:19], v[40:41]
	v_fma_f64 v[54:55], v[100:101], v[58:59], -v[6:7]
	v_accvgpr_read_b32 v21, a79
	s_waitcnt lgkmcnt(1)
	v_mul_f64 v[58:59], v[22:23], v[38:39]
	v_fma_f64 v[94:95], v[16:17], v[42:43], -v[14:15]
	v_mul_f64 v[14:15], v[22:23], v[36:37]
	v_fmac_f64_e32 v[58:59], v[20:21], v[36:37]
	v_fma_f64 v[70:71], v[20:21], v[38:39], -v[14:15]
	v_accvgpr_read_b32 v20, a70
	v_accvgpr_read_b32 v22, a72
	;; [unrolled: 1-line block ×3, first 2 shown]
	v_mul_f64 v[82:83], v[18:19], v[42:43]
	v_mul_f64 v[92:93], v[90:91], v[46:47]
	v_accvgpr_read_b32 v21, a71
	s_waitcnt lgkmcnt(0)
	v_mul_f64 v[68:69], v[22:23], v[114:115]
	v_mul_f64 v[18:19], v[90:91], v[44:45]
	v_fmac_f64_e32 v[92:93], v[88:89], v[44:45]
	v_fmac_f64_e32 v[68:69], v[20:21], v[112:113]
	s_mov_b32 s26, 0xfd768dbf
	v_fma_f64 v[62:63], v[88:89], v[46:47], -v[18:19]
	v_mul_f64 v[18:19], v[22:23], v[112:113]
	v_mul_f64 v[72:73], v[110:111], v[118:119]
	v_fmac_f64_e32 v[82:83], v[16:17], v[40:41]
	s_mov_b32 s28, 0xf8bb580b
	v_add_f64 v[118:119], v[92:93], -v[68:69]
	s_mov_b32 s27, 0xbfd207e7
	v_fma_f64 v[60:61], v[20:21], v[114:115], -v[18:19]
	s_mov_b32 s24, 0x9bcd5057
	v_fmac_f64_e32 v[56:57], v[12:13], v[48:49]
	s_mov_b32 s22, 0xbb3a28a1
	v_add_f64 v[110:111], v[82:83], -v[58:59]
	s_mov_b32 s29, 0x3fe14ced
	s_mov_b32 s20, 0x8764f0ba
	v_mul_f64 v[16:17], v[118:119], s[26:27]
	v_add_f64 v[88:89], v[62:63], v[60:61]
	s_mov_b32 s25, 0xbfeeb42a
	v_fmac_f64_e32 v[72:73], v[108:109], v[116:117]
	v_add_f64 v[108:109], v[56:57], -v[52:53]
	s_mov_b32 s23, 0xbfe82f19
	s_mov_b32 s18, 0x7f775887
	v_mul_f64 v[12:13], v[110:111], s[28:29]
	v_add_f64 v[96:97], v[94:95], v[70:71]
	s_mov_b32 s21, 0x3feaeb8c
	v_fma_f64 v[18:19], s[24:25], v[88:89], v[16:17]
	v_add_f64 v[130:131], v[62:63], -v[60:61]
	s_mov_b32 s6, 0x43842ef
	v_add_f64 v[106:107], v[64:65], -v[66:67]
	s_mov_b32 s17, 0x3fed1bb4
	s_mov_b32 s16, 0x8eee2c13
	v_mul_f64 v[8:9], v[108:109], s[22:23]
	v_add_f64 v[102:103], v[86:87], v[80:81]
	s_mov_b32 s19, 0xbfe4f49e
	v_fma_f64 v[14:15], s[20:21], v[96:97], v[12:13]
	v_add_f64 v[18:19], v[34:35], v[18:19]
	v_add_f64 v[128:129], v[94:95], -v[70:71]
	v_add_f64 v[116:117], v[92:93], v[68:69]
	v_mul_f64 v[26:27], v[130:131], s[26:27]
	v_add_f64 v[124:125], v[72:73], -v[74:75]
	s_mov_b32 s7, 0xbfefac9e
	s_mov_b32 s2, 0x640f44db
	v_mul_f64 v[4:5], v[106:107], s[16:17]
	v_add_f64 v[100:101], v[84:85], v[54:55]
	v_fma_f64 v[10:11], s[18:19], v[102:103], v[8:9]
	v_add_f64 v[14:15], v[14:15], v[18:19]
	v_add_f64 v[126:127], v[86:87], -v[80:81]
	v_add_f64 v[114:115], v[82:83], v[58:59]
	v_mul_f64 v[22:23], v[128:129], s[28:29]
	v_fma_f64 v[28:29], v[116:117], s[24:25], -v[26:27]
	v_mul_f64 v[0:1], v[124:125], s[6:7]
	v_add_f64 v[104:105], v[76:77], v[78:79]
	s_mov_b32 s3, 0xbfc2375f
	v_fma_f64 v[6:7], s[14:15], v[100:101], v[4:5]
	v_add_f64 v[10:11], v[10:11], v[14:15]
	v_add_f64 v[122:123], v[84:85], -v[54:55]
	v_add_f64 v[112:113], v[56:57], v[52:53]
	v_mul_f64 v[18:19], v[126:127], s[22:23]
	v_fma_f64 v[24:25], v[114:115], s[20:21], -v[22:23]
	v_add_f64 v[28:29], v[32:33], v[28:29]
	v_fma_f64 v[2:3], s[2:3], v[104:105], v[0:1]
	v_add_f64 v[6:7], v[6:7], v[10:11]
	v_add_f64 v[120:121], v[76:77], -v[78:79]
	v_add_f64 v[98:99], v[64:65], v[66:67]
	v_mul_f64 v[10:11], v[122:123], s[16:17]
	v_fma_f64 v[20:21], v[112:113], s[18:19], -v[18:19]
	v_add_f64 v[24:25], v[24:25], v[28:29]
	v_add_f64 v[38:39], v[2:3], v[6:7]
	;; [unrolled: 1-line block ×3, first 2 shown]
	v_mul_f64 v[2:3], v[120:121], s[6:7]
	v_fma_f64 v[14:15], v[98:99], s[14:15], -v[10:11]
	v_add_f64 v[20:21], v[20:21], v[24:25]
	v_fma_f64 v[6:7], v[90:91], s[2:3], -v[2:3]
	v_add_f64 v[14:15], v[14:15], v[20:21]
	v_add_f64 v[36:37], v[6:7], v[14:15]
	v_fma_f64 v[6:7], v[102:103], s[18:19], -v[8:9]
	v_fma_f64 v[8:9], v[96:97], s[20:21], -v[12:13]
	;; [unrolled: 1-line block ×3, first 2 shown]
	v_add_f64 v[12:13], v[34:35], v[12:13]
	v_add_f64 v[8:9], v[8:9], v[12:13]
	v_fma_f64 v[4:5], v[100:101], s[14:15], -v[4:5]
	v_add_f64 v[6:7], v[6:7], v[8:9]
	v_fma_f64 v[0:1], v[104:105], s[2:3], -v[0:1]
	v_add_f64 v[4:5], v[4:5], v[6:7]
	v_fmac_f64_e32 v[26:27], s[24:25], v[116:117]
	v_add_f64 v[42:43], v[0:1], v[4:5]
	v_fmac_f64_e32 v[22:23], s[20:21], v[114:115]
	;; [unrolled: 2-line block ×3, first 2 shown]
	v_add_f64 v[0:1], v[22:23], v[0:1]
	s_mov_b32 s35, 0x3fefac9e
	s_mov_b32 s34, s6
	v_mul_f64 v[16:17], v[118:119], s[22:23]
	v_add_f64 v[0:1], v[18:19], v[0:1]
	s_mov_b32 s31, 0xbfe14ced
	s_mov_b32 s30, s28
	v_mul_f64 v[12:13], v[110:111], s[34:35]
	v_fma_f64 v[18:19], s[18:19], v[88:89], v[16:17]
	v_fmac_f64_e32 v[10:11], s[14:15], v[98:99]
	v_mul_f64 v[8:9], v[108:109], s[30:31]
	v_fma_f64 v[14:15], s[2:3], v[96:97], v[12:13]
	v_add_f64 v[18:19], v[34:35], v[18:19]
	v_mul_f64 v[26:27], v[130:131], s[22:23]
	v_fmac_f64_e32 v[2:3], s[2:3], v[90:91]
	v_add_f64 v[0:1], v[10:11], v[0:1]
	v_mul_f64 v[4:5], v[106:107], s[26:27]
	v_fma_f64 v[10:11], s[20:21], v[102:103], v[8:9]
	v_add_f64 v[14:15], v[14:15], v[18:19]
	v_mul_f64 v[22:23], v[128:129], s[34:35]
	v_fma_f64 v[28:29], v[116:117], s[18:19], -v[26:27]
	v_add_f64 v[40:41], v[2:3], v[0:1]
	v_mul_f64 v[0:1], v[124:125], s[16:17]
	v_fma_f64 v[6:7], s[24:25], v[100:101], v[4:5]
	v_add_f64 v[10:11], v[10:11], v[14:15]
	v_mul_f64 v[18:19], v[126:127], s[30:31]
	v_fma_f64 v[24:25], v[114:115], s[2:3], -v[22:23]
	v_add_f64 v[28:29], v[32:33], v[28:29]
	v_fma_f64 v[2:3], s[14:15], v[104:105], v[0:1]
	v_add_f64 v[6:7], v[6:7], v[10:11]
	v_mul_f64 v[10:11], v[122:123], s[26:27]
	v_fma_f64 v[20:21], v[112:113], s[20:21], -v[18:19]
	v_add_f64 v[24:25], v[24:25], v[28:29]
	v_add_f64 v[46:47], v[2:3], v[6:7]
	v_mul_f64 v[2:3], v[120:121], s[16:17]
	v_fma_f64 v[14:15], v[98:99], s[24:25], -v[10:11]
	v_add_f64 v[20:21], v[20:21], v[24:25]
	v_fma_f64 v[6:7], v[90:91], s[14:15], -v[2:3]
	v_add_f64 v[14:15], v[14:15], v[20:21]
	v_add_f64 v[44:45], v[6:7], v[14:15]
	v_fma_f64 v[6:7], v[102:103], s[20:21], -v[8:9]
	v_fma_f64 v[8:9], v[96:97], s[2:3], -v[12:13]
	v_fma_f64 v[12:13], v[88:89], s[18:19], -v[16:17]
	v_add_f64 v[12:13], v[34:35], v[12:13]
	v_add_f64 v[8:9], v[8:9], v[12:13]
	v_fma_f64 v[4:5], v[100:101], s[24:25], -v[4:5]
	v_add_f64 v[6:7], v[6:7], v[8:9]
	v_fma_f64 v[0:1], v[104:105], s[14:15], -v[0:1]
	v_add_f64 v[4:5], v[4:5], v[6:7]
	v_fmac_f64_e32 v[26:27], s[18:19], v[116:117]
	v_add_f64 v[50:51], v[0:1], v[4:5]
	v_fmac_f64_e32 v[22:23], s[2:3], v[114:115]
	;; [unrolled: 2-line block ×3, first 2 shown]
	v_add_f64 v[0:1], v[22:23], v[0:1]
	s_mov_b32 s37, 0x3fd207e7
	s_mov_b32 s36, s26
	v_mul_f64 v[16:17], v[118:119], s[6:7]
	v_add_f64 v[0:1], v[18:19], v[0:1]
	v_mul_f64 v[12:13], v[110:111], s[36:37]
	v_fma_f64 v[18:19], s[2:3], v[88:89], v[16:17]
	v_fma_f64 v[16:17], v[88:89], s[2:3], -v[16:17]
	v_fmac_f64_e32 v[10:11], s[24:25], v[98:99]
	v_mul_f64 v[8:9], v[108:109], s[16:17]
	v_fma_f64 v[14:15], s[24:25], v[96:97], v[12:13]
	v_fma_f64 v[12:13], v[96:97], s[24:25], -v[12:13]
	v_add_f64 v[16:17], v[34:35], v[16:17]
	v_fmac_f64_e32 v[2:3], s[14:15], v[90:91]
	v_add_f64 v[0:1], v[10:11], v[0:1]
	v_mul_f64 v[6:7], v[106:107], s[30:31]
	v_fma_f64 v[10:11], s[14:15], v[102:103], v[8:9]
	v_fma_f64 v[8:9], v[102:103], s[14:15], -v[8:9]
	v_add_f64 v[12:13], v[12:13], v[16:17]
	v_add_f64 v[48:49], v[2:3], v[0:1]
	v_mul_f64 v[4:5], v[124:125], s[22:23]
	v_fma_f64 v[2:3], s[20:21], v[100:101], v[6:7]
	v_mul_f64 v[28:29], v[130:131], s[6:7]
	v_fma_f64 v[6:7], v[100:101], s[20:21], -v[6:7]
	v_add_f64 v[8:9], v[8:9], v[12:13]
	v_fma_f64 v[0:1], s[18:19], v[104:105], v[4:5]
	v_add_f64 v[18:19], v[34:35], v[18:19]
	v_mul_f64 v[24:25], v[128:129], s[36:37]
	v_fma_f64 v[30:31], v[116:117], s[2:3], -v[28:29]
	v_fma_f64 v[4:5], v[104:105], s[18:19], -v[4:5]
	v_add_f64 v[6:7], v[6:7], v[8:9]
	v_fmac_f64_e32 v[28:29], s[2:3], v[116:117]
	v_add_f64 v[14:15], v[14:15], v[18:19]
	v_mul_f64 v[20:21], v[126:127], s[16:17]
	v_fma_f64 v[26:27], v[114:115], s[24:25], -v[24:25]
	v_add_f64 v[30:31], v[32:33], v[30:31]
	v_add_f64 v[6:7], v[4:5], v[6:7]
	v_fmac_f64_e32 v[24:25], s[24:25], v[114:115]
	v_add_f64 v[4:5], v[32:33], v[28:29]
	s_mov_b32 s17, 0xbfed1bb4
	v_add_f64 v[10:11], v[10:11], v[14:15]
	v_mul_f64 v[14:15], v[122:123], s[30:31]
	v_fma_f64 v[22:23], v[112:113], s[14:15], -v[20:21]
	v_add_f64 v[26:27], v[26:27], v[30:31]
	v_fmac_f64_e32 v[20:21], s[14:15], v[112:113]
	v_add_f64 v[4:5], v[24:25], v[4:5]
	v_mul_f64 v[24:25], v[118:119], s[16:17]
	v_add_f64 v[2:3], v[2:3], v[10:11]
	v_mul_f64 v[10:11], v[120:121], s[22:23]
	v_fma_f64 v[18:19], v[98:99], s[20:21], -v[14:15]
	v_add_f64 v[22:23], v[22:23], v[26:27]
	v_add_f64 v[4:5], v[20:21], v[4:5]
	v_mul_f64 v[20:21], v[110:111], s[22:23]
	v_fma_f64 v[26:27], s[14:15], v[88:89], v[24:25]
	v_fma_f64 v[24:25], v[88:89], s[14:15], -v[24:25]
	v_add_f64 v[2:3], v[0:1], v[2:3]
	v_fma_f64 v[0:1], v[90:91], s[18:19], -v[10:11]
	v_add_f64 v[18:19], v[18:19], v[22:23]
	v_fmac_f64_e32 v[14:15], s[20:21], v[98:99]
	v_mul_f64 v[16:17], v[108:109], s[36:37]
	v_fma_f64 v[22:23], s[18:19], v[96:97], v[20:21]
	v_fma_f64 v[20:21], v[96:97], s[18:19], -v[20:21]
	v_add_f64 v[24:25], v[34:35], v[24:25]
	v_add_f64 v[0:1], v[0:1], v[18:19]
	v_fmac_f64_e32 v[10:11], s[18:19], v[90:91]
	v_add_f64 v[4:5], v[14:15], v[4:5]
	v_mul_f64 v[14:15], v[106:107], s[34:35]
	v_fma_f64 v[18:19], s[24:25], v[102:103], v[16:17]
	v_fma_f64 v[16:17], v[102:103], s[24:25], -v[16:17]
	v_add_f64 v[20:21], v[20:21], v[24:25]
	v_add_f64 v[4:5], v[10:11], v[4:5]
	v_mul_f64 v[12:13], v[124:125], s[28:29]
	v_fma_f64 v[10:11], s[2:3], v[100:101], v[14:15]
	v_mul_f64 v[136:137], v[130:131], s[16:17]
	v_fma_f64 v[14:15], v[100:101], s[2:3], -v[14:15]
	v_add_f64 v[16:17], v[16:17], v[20:21]
	v_fma_f64 v[8:9], s[20:21], v[104:105], v[12:13]
	v_add_f64 v[26:27], v[34:35], v[26:27]
	v_mul_f64 v[132:133], v[128:129], s[22:23]
	v_fma_f64 v[138:139], v[116:117], s[14:15], -v[136:137]
	v_fma_f64 v[12:13], v[104:105], s[20:21], -v[12:13]
	v_add_f64 v[14:15], v[14:15], v[16:17]
	v_fmac_f64_e32 v[136:137], s[14:15], v[116:117]
	v_add_f64 v[22:23], v[22:23], v[26:27]
	v_mul_f64 v[28:29], v[126:127], s[36:37]
	v_fma_f64 v[134:135], v[114:115], s[18:19], -v[132:133]
	v_add_f64 v[14:15], v[12:13], v[14:15]
	v_fmac_f64_e32 v[132:133], s[18:19], v[114:115]
	v_add_f64 v[12:13], v[32:33], v[136:137]
	v_add_f64 v[18:19], v[18:19], v[22:23]
	v_mul_f64 v[22:23], v[122:123], s[34:35]
	v_fma_f64 v[30:31], v[112:113], s[24:25], -v[28:29]
	v_fmac_f64_e32 v[28:29], s[24:25], v[112:113]
	v_add_f64 v[12:13], v[132:133], v[12:13]
	v_fma_f64 v[26:27], v[98:99], s[2:3], -v[22:23]
	v_add_f64 v[138:139], v[32:33], v[138:139]
	v_fmac_f64_e32 v[22:23], s[2:3], v[98:99]
	v_add_f64 v[12:13], v[28:29], v[12:13]
	v_add_f64 v[134:135], v[134:135], v[138:139]
	;; [unrolled: 1-line block ×3, first 2 shown]
	v_mul_f64 v[22:23], v[106:107], s[22:23]
	v_mul_f64 v[106:107], v[118:119], s[30:31]
	v_add_f64 v[10:11], v[10:11], v[18:19]
	v_mul_f64 v[18:19], v[120:121], s[28:29]
	v_add_f64 v[30:31], v[30:31], v[134:135]
	v_mul_f64 v[24:25], v[108:109], s[6:7]
	v_mul_f64 v[28:29], v[110:111], s[16:17]
	v_fma_f64 v[108:109], s[20:21], v[88:89], v[106:107]
	v_fma_f64 v[88:89], v[88:89], s[20:21], -v[106:107]
	v_add_f64 v[10:11], v[8:9], v[10:11]
	v_fma_f64 v[8:9], v[90:91], s[20:21], -v[18:19]
	v_add_f64 v[26:27], v[26:27], v[30:31]
	v_fma_f64 v[30:31], s[14:15], v[96:97], v[28:29]
	v_add_f64 v[108:109], v[34:35], v[108:109]
	v_fma_f64 v[28:29], v[96:97], s[14:15], -v[28:29]
	v_add_f64 v[88:89], v[34:35], v[88:89]
	v_add_f64 v[8:9], v[8:9], v[26:27]
	v_fma_f64 v[26:27], s[2:3], v[102:103], v[24:25]
	v_add_f64 v[30:31], v[30:31], v[108:109]
	v_fma_f64 v[24:25], v[102:103], s[2:3], -v[24:25]
	v_add_f64 v[28:29], v[28:29], v[88:89]
	v_fmac_f64_e32 v[18:19], s[20:21], v[90:91]
	v_mul_f64 v[16:17], v[124:125], s[26:27]
	v_fma_f64 v[20:21], s[18:19], v[100:101], v[22:23]
	v_add_f64 v[26:27], v[26:27], v[30:31]
	v_mul_f64 v[124:125], v[130:131], s[30:31]
	v_fma_f64 v[22:23], v[100:101], s[18:19], -v[22:23]
	v_add_f64 v[24:25], v[24:25], v[28:29]
	v_add_f64 v[12:13], v[18:19], v[12:13]
	v_fma_f64 v[18:19], s[24:25], v[104:105], v[16:17]
	v_add_f64 v[20:21], v[20:21], v[26:27]
	v_mul_f64 v[26:27], v[120:121], s[26:27]
	v_mul_f64 v[110:111], v[126:127], s[6:7]
	;; [unrolled: 1-line block ×3, first 2 shown]
	v_fma_f64 v[126:127], v[116:117], s[20:21], -v[124:125]
	v_fma_f64 v[16:17], v[104:105], s[24:25], -v[16:17]
	v_add_f64 v[22:23], v[22:23], v[24:25]
	v_fmac_f64_e32 v[124:125], s[20:21], v[116:117]
	v_mul_f64 v[30:31], v[122:123], s[22:23]
	v_fma_f64 v[122:123], v[114:115], s[14:15], -v[120:121]
	v_add_f64 v[24:25], v[16:17], v[22:23]
	v_fmac_f64_e32 v[120:121], s[14:15], v[114:115]
	v_add_f64 v[16:17], v[32:33], v[124:125]
	v_fma_f64 v[118:119], v[112:113], s[2:3], -v[110:111]
	v_fmac_f64_e32 v[110:111], s[2:3], v[112:113]
	v_add_f64 v[16:17], v[120:121], v[16:17]
	v_fma_f64 v[108:109], v[98:99], s[18:19], -v[30:31]
	v_fmac_f64_e32 v[30:31], s[18:19], v[98:99]
	v_add_f64 v[16:17], v[110:111], v[16:17]
	v_add_f64 v[20:21], v[18:19], v[20:21]
	v_fma_f64 v[18:19], v[90:91], s[24:25], -v[26:27]
	v_fmac_f64_e32 v[26:27], s[24:25], v[90:91]
	v_add_f64 v[16:17], v[30:31], v[16:17]
	v_add_f64 v[22:23], v[26:27], v[16:17]
	;; [unrolled: 1-line block ×26, first 2 shown]
	v_lshl_add_u32 v16, v158, 4, v160
	v_add_f64 v[18:19], v[18:19], v[108:109]
	ds_write_b128 v161, v[26:29]
	ds_write_b128 v16, v[22:25] offset:1152
	ds_write_b128 v16, v[12:15] offset:2304
	;; [unrolled: 1-line block ×10, first 2 shown]
.LBB0_37:
	s_or_b64 exec, exec, s[0:1]
	s_waitcnt lgkmcnt(0)
	s_barrier
	ds_read_b128 v[0:3], v161
	v_accvgpr_read_b32 v6, a14
	v_mad_u64_u32 v[14:15], s[0:1], s10, v6, 0
	v_mov_b32_e32 v4, v15
	v_accvgpr_read_b32 v16, a32
	v_mad_u64_u32 v[4:5], s[0:1], s11, v6, v[4:5]
	v_accvgpr_read_b32 v18, a34
	v_accvgpr_read_b32 v19, a35
	v_mov_b32_e32 v15, v4
	ds_read_b128 v[4:7], v161 offset:1408
	v_accvgpr_read_b32 v17, a33
	s_waitcnt lgkmcnt(1)
	v_mul_f64 v[8:9], v[18:19], v[2:3]
	v_fmac_f64_e32 v[8:9], v[16:17], v[0:1]
	s_mov_b32 s0, 0xa052bf5b
	v_mul_f64 v[0:1], v[18:19], v[0:1]
	s_mov_b32 s1, 0x3f54afd6
	v_fma_f64 v[0:1], v[16:17], v[2:3], -v[0:1]
	v_mad_u64_u32 v[16:17], s[2:3], s8, v158, 0
	v_mul_f64 v[10:11], v[0:1], s[0:1]
	v_mov_b32_e32 v0, v17
	v_mad_u64_u32 v[0:1], s[2:3], s9, v158, v[0:1]
	v_mov_b32_e32 v17, v0
	ds_read_b128 v[0:3], v161 offset:6336
	v_mov_b32_e32 v12, s12
	v_mov_b32_e32 v13, s13
	v_lshl_add_u64 v[12:13], v[14:15], 4, v[12:13]
	v_accvgpr_read_b32 v21, a5
	v_mul_f64 v[8:9], v[8:9], s[0:1]
	v_lshl_add_u64 v[16:17], v[16:17], 4, v[12:13]
	v_accvgpr_read_b32 v20, a4
	global_store_dwordx4 v[16:17], v[8:11], off
	ds_read_b128 v[8:11], v161 offset:7744
	v_accvgpr_read_b32 v19, a3
	v_accvgpr_read_b32 v18, a2
	s_waitcnt lgkmcnt(1)
	v_mul_f64 v[12:13], v[20:21], v[2:3]
	s_mul_i32 s2, s9, 0x18c
	s_mul_hi_u32 s3, s8, 0x18c
	v_fmac_f64_e32 v[12:13], v[18:19], v[0:1]
	v_mul_f64 v[0:1], v[20:21], v[0:1]
	s_add_i32 s3, s3, s2
	s_mul_i32 s2, s8, 0x18c
	v_fma_f64 v[0:1], v[18:19], v[2:3], -v[0:1]
	s_lshl_b64 s[10:11], s[2:3], 4
	v_mul_f64 v[12:13], v[12:13], s[0:1]
	v_mul_f64 v[14:15], v[0:1], s[0:1]
	v_lshl_add_u64 v[16:17], v[16:17], 0, s[10:11]
	global_store_dwordx4 v[16:17], v[12:15], off
	s_mul_hi_u32 s7, s8, 0xfffffecc
	s_mul_i32 s6, s9, 0xfffffecc
	v_accvgpr_read_b32 v12, a20
	v_accvgpr_read_b32 v14, a22
	v_accvgpr_read_b32 v15, a23
	s_sub_i32 s7, s7, s8
	v_accvgpr_read_b32 v13, a21
	v_mul_f64 v[0:1], v[14:15], v[6:7]
	v_mul_f64 v[2:3], v[14:15], v[4:5]
	s_add_i32 s7, s7, s6
	s_mul_i32 s6, s8, 0xfffffecc
	v_fmac_f64_e32 v[0:1], v[12:13], v[4:5]
	v_fma_f64 v[2:3], v[12:13], v[6:7], -v[2:3]
	s_lshl_b64 s[8:9], s[6:7], 4
	v_accvgpr_read_b32 v4, a28
	v_mul_f64 v[0:1], v[0:1], s[0:1]
	v_mul_f64 v[2:3], v[2:3], s[0:1]
	v_lshl_add_u64 v[12:13], v[16:17], 0, s[8:9]
	v_accvgpr_read_b32 v6, a30
	v_accvgpr_read_b32 v7, a31
	global_store_dwordx4 v[12:13], v[0:3], off
	v_accvgpr_read_b32 v5, a29
	v_accvgpr_read_b32 v17, a9
	s_waitcnt lgkmcnt(0)
	v_mul_f64 v[0:1], v[6:7], v[10:11]
	v_mul_f64 v[2:3], v[6:7], v[8:9]
	v_fmac_f64_e32 v[0:1], v[4:5], v[8:9]
	v_fma_f64 v[2:3], v[4:5], v[10:11], -v[2:3]
	ds_read_b128 v[4:7], v161 offset:2816
	v_mul_f64 v[0:1], v[0:1], s[0:1]
	v_mul_f64 v[2:3], v[2:3], s[0:1]
	v_lshl_add_u64 v[12:13], v[12:13], 0, s[10:11]
	v_accvgpr_read_b32 v16, a8
	global_store_dwordx4 v[12:13], v[0:3], off
	ds_read_b128 v[0:3], v161 offset:4224
	v_accvgpr_read_b32 v15, a7
	v_accvgpr_read_b32 v14, a6
	s_waitcnt lgkmcnt(1)
	v_mul_f64 v[8:9], v[16:17], v[6:7]
	v_fmac_f64_e32 v[8:9], v[14:15], v[4:5]
	v_mul_f64 v[4:5], v[16:17], v[4:5]
	v_fma_f64 v[10:11], v[14:15], v[6:7], -v[4:5]
	ds_read_b128 v[4:7], v161 offset:9152
	v_accvgpr_read_b32 v21, a13
	v_mul_f64 v[8:9], v[8:9], s[0:1]
	v_mul_f64 v[10:11], v[10:11], s[0:1]
	v_lshl_add_u64 v[16:17], v[12:13], 0, s[8:9]
	v_accvgpr_read_b32 v20, a12
	global_store_dwordx4 v[16:17], v[8:11], off
	ds_read_b128 v[8:11], v161 offset:10560
	v_accvgpr_read_b32 v19, a11
	v_accvgpr_read_b32 v18, a10
	s_waitcnt lgkmcnt(1)
	v_mul_f64 v[12:13], v[20:21], v[6:7]
	v_fmac_f64_e32 v[12:13], v[18:19], v[4:5]
	v_mul_f64 v[4:5], v[20:21], v[4:5]
	v_fma_f64 v[4:5], v[18:19], v[6:7], -v[4:5]
	v_mul_f64 v[12:13], v[12:13], s[0:1]
	v_mul_f64 v[14:15], v[4:5], s[0:1]
	v_lshl_add_u64 v[16:17], v[16:17], 0, s[10:11]
	global_store_dwordx4 v[16:17], v[12:15], off
	s_nop 1
	v_accvgpr_read_b32 v12, a16
	v_accvgpr_read_b32 v14, a18
	;; [unrolled: 1-line block ×4, first 2 shown]
	v_mul_f64 v[4:5], v[14:15], v[2:3]
	v_fmac_f64_e32 v[4:5], v[12:13], v[0:1]
	v_mul_f64 v[0:1], v[14:15], v[0:1]
	v_fma_f64 v[0:1], v[12:13], v[2:3], -v[0:1]
	v_accvgpr_read_b32 v12, a24
	v_mul_f64 v[4:5], v[4:5], s[0:1]
	v_mul_f64 v[6:7], v[0:1], s[0:1]
	v_lshl_add_u64 v[0:1], v[16:17], 0, s[8:9]
	v_accvgpr_read_b32 v14, a26
	v_accvgpr_read_b32 v15, a27
	global_store_dwordx4 v[0:1], v[4:7], off
	v_accvgpr_read_b32 v13, a25
	s_waitcnt lgkmcnt(0)
	v_mul_f64 v[2:3], v[14:15], v[10:11]
	v_mul_f64 v[4:5], v[14:15], v[8:9]
	v_fmac_f64_e32 v[2:3], v[12:13], v[8:9]
	v_fma_f64 v[4:5], v[12:13], v[10:11], -v[4:5]
	v_mul_f64 v[2:3], v[2:3], s[0:1]
	v_mul_f64 v[4:5], v[4:5], s[0:1]
	v_lshl_add_u64 v[0:1], v[0:1], 0, s[10:11]
	global_store_dwordx4 v[0:1], v[2:5], off
	s_and_b64 exec, exec, s[4:5]
	s_cbranch_execz .LBB0_39
; %bb.38:
	v_accvgpr_read_b32 v7, a1
	v_accvgpr_read_b32 v6, a0
	v_add_co_u32_e32 v2, vcc, 0x1000, v6
	s_movk_i32 s4, 0x2000
	s_nop 0
	v_addc_co_u32_e32 v3, vcc, 0, v7, vcc
	v_add_co_u32_e32 v6, vcc, s4, v6
	global_load_dwordx4 v[2:5], v[2:3], off offset:1536
	s_nop 0
	v_addc_co_u32_e32 v7, vcc, 0, v7, vcc
	global_load_dwordx4 v[6:9], v[6:7], off offset:3776
	ds_read_b128 v[10:13], v161 offset:5632
	ds_read_b128 v[14:17], v161 offset:11968
	v_lshl_add_u64 v[18:19], s[6:7], 4, v[0:1]
	v_lshl_add_u64 v[20:21], s[2:3], 4, v[18:19]
	s_waitcnt vmcnt(1) lgkmcnt(1)
	v_mul_f64 v[0:1], v[12:13], v[4:5]
	v_mul_f64 v[4:5], v[10:11], v[4:5]
	v_fmac_f64_e32 v[0:1], v[10:11], v[2:3]
	s_waitcnt vmcnt(0) lgkmcnt(0)
	v_mul_f64 v[22:23], v[16:17], v[8:9]
	v_mul_f64 v[8:9], v[14:15], v[8:9]
	v_fma_f64 v[2:3], v[2:3], v[12:13], -v[4:5]
	v_fmac_f64_e32 v[22:23], v[14:15], v[6:7]
	v_fma_f64 v[6:7], v[6:7], v[16:17], -v[8:9]
	v_mul_f64 v[0:1], v[0:1], s[0:1]
	v_mul_f64 v[2:3], v[2:3], s[0:1]
	;; [unrolled: 1-line block ×4, first 2 shown]
	global_store_dwordx4 v[18:19], v[0:3], off
	global_store_dwordx4 v[20:21], v[4:7], off
.LBB0_39:
	s_endpgm
	.section	.rodata,"a",@progbits
	.p2align	6, 0x0
	.amdhsa_kernel bluestein_single_fwd_len792_dim1_dp_op_CI_CI
		.amdhsa_group_segment_fixed_size 25344
		.amdhsa_private_segment_fixed_size 0
		.amdhsa_kernarg_size 104
		.amdhsa_user_sgpr_count 2
		.amdhsa_user_sgpr_dispatch_ptr 0
		.amdhsa_user_sgpr_queue_ptr 0
		.amdhsa_user_sgpr_kernarg_segment_ptr 1
		.amdhsa_user_sgpr_dispatch_id 0
		.amdhsa_user_sgpr_kernarg_preload_length 0
		.amdhsa_user_sgpr_kernarg_preload_offset 0
		.amdhsa_user_sgpr_private_segment_size 0
		.amdhsa_uses_dynamic_stack 0
		.amdhsa_enable_private_segment 0
		.amdhsa_system_sgpr_workgroup_id_x 1
		.amdhsa_system_sgpr_workgroup_id_y 0
		.amdhsa_system_sgpr_workgroup_id_z 0
		.amdhsa_system_sgpr_workgroup_info 0
		.amdhsa_system_vgpr_workitem_id 0
		.amdhsa_next_free_vgpr 380
		.amdhsa_next_free_sgpr 46
		.amdhsa_accum_offset 256
		.amdhsa_reserve_vcc 1
		.amdhsa_float_round_mode_32 0
		.amdhsa_float_round_mode_16_64 0
		.amdhsa_float_denorm_mode_32 3
		.amdhsa_float_denorm_mode_16_64 3
		.amdhsa_dx10_clamp 1
		.amdhsa_ieee_mode 1
		.amdhsa_fp16_overflow 0
		.amdhsa_tg_split 0
		.amdhsa_exception_fp_ieee_invalid_op 0
		.amdhsa_exception_fp_denorm_src 0
		.amdhsa_exception_fp_ieee_div_zero 0
		.amdhsa_exception_fp_ieee_overflow 0
		.amdhsa_exception_fp_ieee_underflow 0
		.amdhsa_exception_fp_ieee_inexact 0
		.amdhsa_exception_int_div_zero 0
	.end_amdhsa_kernel
	.text
.Lfunc_end0:
	.size	bluestein_single_fwd_len792_dim1_dp_op_CI_CI, .Lfunc_end0-bluestein_single_fwd_len792_dim1_dp_op_CI_CI
                                        ; -- End function
	.section	.AMDGPU.csdata,"",@progbits
; Kernel info:
; codeLenInByte = 16948
; NumSgprs: 52
; NumVgprs: 256
; NumAgprs: 124
; TotalNumVgprs: 380
; ScratchSize: 0
; MemoryBound: 0
; FloatMode: 240
; IeeeMode: 1
; LDSByteSize: 25344 bytes/workgroup (compile time only)
; SGPRBlocks: 6
; VGPRBlocks: 47
; NumSGPRsForWavesPerEU: 52
; NumVGPRsForWavesPerEU: 380
; AccumOffset: 256
; Occupancy: 1
; WaveLimiterHint : 1
; COMPUTE_PGM_RSRC2:SCRATCH_EN: 0
; COMPUTE_PGM_RSRC2:USER_SGPR: 2
; COMPUTE_PGM_RSRC2:TRAP_HANDLER: 0
; COMPUTE_PGM_RSRC2:TGID_X_EN: 1
; COMPUTE_PGM_RSRC2:TGID_Y_EN: 0
; COMPUTE_PGM_RSRC2:TGID_Z_EN: 0
; COMPUTE_PGM_RSRC2:TIDIG_COMP_CNT: 0
; COMPUTE_PGM_RSRC3_GFX90A:ACCUM_OFFSET: 63
; COMPUTE_PGM_RSRC3_GFX90A:TG_SPLIT: 0
	.text
	.p2alignl 6, 3212836864
	.fill 256, 4, 3212836864
	.type	__hip_cuid_2ff6523ae2eab952,@object ; @__hip_cuid_2ff6523ae2eab952
	.section	.bss,"aw",@nobits
	.globl	__hip_cuid_2ff6523ae2eab952
__hip_cuid_2ff6523ae2eab952:
	.byte	0                               ; 0x0
	.size	__hip_cuid_2ff6523ae2eab952, 1

	.ident	"AMD clang version 19.0.0git (https://github.com/RadeonOpenCompute/llvm-project roc-6.4.0 25133 c7fe45cf4b819c5991fe208aaa96edf142730f1d)"
	.section	".note.GNU-stack","",@progbits
	.addrsig
	.addrsig_sym __hip_cuid_2ff6523ae2eab952
	.amdgpu_metadata
---
amdhsa.kernels:
  - .agpr_count:     124
    .args:
      - .actual_access:  read_only
        .address_space:  global
        .offset:         0
        .size:           8
        .value_kind:     global_buffer
      - .actual_access:  read_only
        .address_space:  global
        .offset:         8
        .size:           8
        .value_kind:     global_buffer
      - .actual_access:  read_only
        .address_space:  global
        .offset:         16
        .size:           8
        .value_kind:     global_buffer
      - .actual_access:  read_only
        .address_space:  global
        .offset:         24
        .size:           8
        .value_kind:     global_buffer
      - .actual_access:  read_only
        .address_space:  global
        .offset:         32
        .size:           8
        .value_kind:     global_buffer
      - .offset:         40
        .size:           8
        .value_kind:     by_value
      - .address_space:  global
        .offset:         48
        .size:           8
        .value_kind:     global_buffer
      - .address_space:  global
        .offset:         56
        .size:           8
        .value_kind:     global_buffer
      - .address_space:  global
        .offset:         64
        .size:           8
        .value_kind:     global_buffer
      - .address_space:  global
        .offset:         72
        .size:           8
        .value_kind:     global_buffer
      - .offset:         80
        .size:           4
        .value_kind:     by_value
      - .address_space:  global
        .offset:         88
        .size:           8
        .value_kind:     global_buffer
      - .address_space:  global
        .offset:         96
        .size:           8
        .value_kind:     global_buffer
    .group_segment_fixed_size: 25344
    .kernarg_segment_align: 8
    .kernarg_segment_size: 104
    .language:       OpenCL C
    .language_version:
      - 2
      - 0
    .max_flat_workgroup_size: 176
    .name:           bluestein_single_fwd_len792_dim1_dp_op_CI_CI
    .private_segment_fixed_size: 0
    .sgpr_count:     52
    .sgpr_spill_count: 0
    .symbol:         bluestein_single_fwd_len792_dim1_dp_op_CI_CI.kd
    .uniform_work_group_size: 1
    .uses_dynamic_stack: false
    .vgpr_count:     380
    .vgpr_spill_count: 0
    .wavefront_size: 64
amdhsa.target:   amdgcn-amd-amdhsa--gfx950
amdhsa.version:
  - 1
  - 2
...

	.end_amdgpu_metadata
